;; amdgpu-corpus repo=ROCm/rocFFT kind=compiled arch=gfx1030 opt=O3
	.text
	.amdgcn_target "amdgcn-amd-amdhsa--gfx1030"
	.amdhsa_code_object_version 6
	.protected	bluestein_single_back_len726_dim1_dp_op_CI_CI ; -- Begin function bluestein_single_back_len726_dim1_dp_op_CI_CI
	.globl	bluestein_single_back_len726_dim1_dp_op_CI_CI
	.p2align	8
	.type	bluestein_single_back_len726_dim1_dp_op_CI_CI,@function
bluestein_single_back_len726_dim1_dp_op_CI_CI: ; @bluestein_single_back_len726_dim1_dp_op_CI_CI
; %bb.0:
	s_load_dwordx4 s[16:19], s[4:5], 0x28
	v_mul_u32_u24_e32 v1, 0x3e1, v0
	v_mov_b32_e32 v173, 0
	s_mov_b32 s0, exec_lo
	v_lshrrev_b32_e32 v44, 16, v1
	v_lshl_add_u32 v172, s6, 1, v44
	s_waitcnt lgkmcnt(0)
	v_cmpx_gt_u64_e64 s[16:17], v[172:173]
	s_cbranch_execz .LBB0_10
; %bb.1:
	s_clause 0x1
	s_load_dwordx4 s[8:11], s[4:5], 0x18
	s_load_dwordx4 s[12:15], s[4:5], 0x0
	v_mul_lo_u16 v1, 0x42, v44
	v_and_b32_e32 v44, 1, v44
	s_mov_b32 s24, 0xf8bb580b
	s_mov_b32 s16, 0x43842ef
	;; [unrolled: 1-line block ×3, first 2 shown]
	v_sub_nc_u16 v96, v0, v1
	s_mov_b32 s7, 0xbfed1bb4
	s_mov_b32 s6, 0x8eee2c13
	;; [unrolled: 1-line block ×4, first 2 shown]
	v_and_b32_e32 v189, 0xffff, v96
	s_mov_b32 s27, 0xbfeeb42a
	s_mov_b32 s35, 0x3fd207e7
	;; [unrolled: 1-line block ×4, first 2 shown]
	v_lshlrev_b32_e32 v45, 4, v189
	s_mov_b32 s30, s16
	s_mov_b32 s28, s24
	s_waitcnt lgkmcnt(0)
	s_load_dwordx4 s[20:23], s[8:9], 0x0
	s_clause 0x1
	global_load_dwordx4 v[4:7], v45, s[12:13]
	global_load_dwordx4 v[0:3], v45, s[12:13] offset:1056
	v_add_co_u32 v166, s0, s12, v45
	v_add_co_ci_u32_e64 v167, null, s13, 0, s0
	s_mov_b32 s12, 0x640f44db
	v_add_co_u32 v32, vcc_lo, 0x2000, v166
	v_add_co_u32 v140, s3, 0x2800, v166
	v_add_co_ci_u32_e32 v33, vcc_lo, 0, v167, vcc_lo
	v_add_co_ci_u32_e64 v141, vcc_lo, 0, v167, s3
	v_add_co_u32 v8, s1, 0x800, v166
	v_add_co_u32 v10, s2, 0x1000, v166
	s_waitcnt lgkmcnt(0)
	v_mad_u64_u32 v[18:19], null, s22, v172, 0
	v_mad_u64_u32 v[28:29], null, s20, v189, 0
	v_add_co_u32 v16, s0, 0x1800, v166
	v_add_co_ci_u32_e64 v9, s1, 0, v167, s1
	v_mov_b32_e32 v12, v19
	v_add_co_ci_u32_e64 v11, s1, 0, v167, s2
	v_mov_b32_e32 v13, v29
	v_add_co_ci_u32_e64 v17, s0, 0, v167, s0
	s_mul_i32 s0, s21, 0x420
	s_mul_hi_u32 s1, s20, 0x420
	v_mad_u64_u32 v[14:15], null, s23, v172, v[12:13]
	s_mul_i32 s2, s20, 0x420
	s_add_i32 s1, s1, s0
	s_clause 0x1
	global_load_dwordx4 v[40:43], v[8:9], off offset:64
	global_load_dwordx4 v[20:23], v[8:9], off offset:1120
	s_mov_b32 s22, 0xfd768dbf
	s_mov_b32 s23, 0xbfd207e7
	s_mov_b32 s13, 0xbfc2375f
	v_mov_b32_e32 v19, v14
	v_mad_u64_u32 v[29:30], null, s21, v189, v[13:14]
	s_clause 0x2
	global_load_dwordx4 v[24:27], v[10:11], off offset:128
	global_load_dwordx4 v[12:15], v[10:11], off offset:1184
	global_load_dwordx4 v[8:11], v[16:17], off offset:192
	s_mov_b32 s20, 0x7f775887
	v_lshlrev_b64 v[30:31], 4, v[18:19]
	global_load_dwordx4 v[16:19], v[16:17], off offset:1248
	s_mov_b32 s21, 0xbfe4f49e
	s_mov_b32 s34, s22
	v_lshlrev_b64 v[28:29], 4, v[28:29]
	v_mul_lo_u16 v139, v96, 11
	v_add_co_u32 v30, vcc_lo, s18, v30
	v_add_co_ci_u32_e32 v31, vcc_lo, s19, v31, vcc_lo
	s_mov_b32 s18, 0xbb3a28a1
	v_add_co_u32 v34, vcc_lo, v30, v28
	v_add_co_ci_u32_e32 v35, vcc_lo, v31, v29, vcc_lo
	global_load_dwordx4 v[28:31], v[32:33], off offset:256
	v_add_co_u32 v36, vcc_lo, v34, s2
	v_add_co_ci_u32_e32 v37, vcc_lo, s1, v35, vcc_lo
	global_load_dwordx4 v[46:49], v[34:35], off
	v_add_co_u32 v38, vcc_lo, v36, s2
	global_load_dwordx4 v[50:53], v[36:37], off
	v_add_co_ci_u32_e32 v39, vcc_lo, s1, v37, vcc_lo
	v_add_co_u32 v34, vcc_lo, v38, s2
	s_mov_b32 s19, 0xbfe82f19
	v_add_co_ci_u32_e32 v35, vcc_lo, s1, v39, vcc_lo
	v_add_co_u32 v36, vcc_lo, v34, s2
	global_load_dwordx4 v[54:57], v[38:39], off
	v_add_co_ci_u32_e32 v37, vcc_lo, s1, v35, vcc_lo
	v_add_co_u32 v38, vcc_lo, v36, s2
	s_clause 0x1
	global_load_dwordx4 v[58:61], v[34:35], off
	global_load_dwordx4 v[62:65], v[36:37], off
	v_add_co_ci_u32_e32 v39, vcc_lo, s1, v37, vcc_lo
	v_add_co_u32 v34, vcc_lo, v38, s2
	v_add_co_ci_u32_e32 v35, vcc_lo, s1, v39, vcc_lo
	v_add_co_u32 v36, vcc_lo, v34, s2
	global_load_dwordx4 v[66:69], v[38:39], off
	v_add_co_ci_u32_e32 v37, vcc_lo, s1, v35, vcc_lo
	v_add_co_u32 v38, vcc_lo, v36, s2
	global_load_dwordx4 v[70:73], v[34:35], off
	;; [unrolled: 3-line block ×3, first 2 shown]
	v_add_co_ci_u32_e32 v83, vcc_lo, s1, v39, vcc_lo
	v_add_co_u32 v86, vcc_lo, v82, s2
	s_mov_b32 s2, 0xd9c712b6
	v_add_co_ci_u32_e32 v87, vcc_lo, s1, v83, vcc_lo
	global_load_dwordx4 v[78:81], v[38:39], off
	global_load_dwordx4 v[32:35], v[32:33], off offset:1312
	global_load_dwordx4 v[82:85], v[82:83], off
	global_load_dwordx4 v[36:39], v[140:141], off offset:320
	global_load_dwordx4 v[86:89], v[86:87], off
	v_cmp_eq_u32_e32 vcc_lo, 1, v44
	s_load_dwordx4 s[8:11], s[10:11], 0x0
	s_mov_b32 s0, 0x8764f0ba
	s_mov_b32 s1, 0x3feaeb8c
	s_mov_b32 s3, 0x3fda9628
	v_cndmask_b32_e64 v191, 0, 0x2d60, vcc_lo
	v_cmp_gt_u16_e32 vcc_lo, 55, v96
	v_add_nc_u32_e32 v190, v191, v45
	s_waitcnt vmcnt(12)
	v_mul_f64 v[90:91], v[48:49], v[6:7]
	v_mul_f64 v[92:93], v[46:47], v[6:7]
	s_waitcnt vmcnt(11)
	v_mul_f64 v[94:95], v[52:53], v[2:3]
	v_mul_f64 v[97:98], v[50:51], v[2:3]
	;; [unrolled: 3-line block ×5, first 2 shown]
	v_fma_f64 v[46:47], v[46:47], v[4:5], v[90:91]
	v_fma_f64 v[48:49], v[48:49], v[4:5], -v[92:93]
	v_fma_f64 v[50:51], v[50:51], v[0:1], v[94:95]
	v_fma_f64 v[52:53], v[52:53], v[0:1], -v[97:98]
	s_waitcnt vmcnt(7)
	v_mul_f64 v[111:112], v[68:69], v[14:15]
	v_mul_f64 v[113:114], v[66:67], v[14:15]
	s_waitcnt vmcnt(6)
	v_mul_f64 v[115:116], v[72:73], v[10:11]
	v_mul_f64 v[117:118], v[70:71], v[10:11]
	v_fma_f64 v[54:55], v[54:55], v[40:41], v[99:100]
	v_fma_f64 v[56:57], v[56:57], v[40:41], -v[101:102]
	s_waitcnt vmcnt(5)
	v_mul_f64 v[119:120], v[76:77], v[18:19]
	v_mul_f64 v[121:122], v[74:75], v[18:19]
	v_fma_f64 v[58:59], v[58:59], v[20:21], v[103:104]
	v_fma_f64 v[60:61], v[60:61], v[20:21], -v[105:106]
	s_waitcnt vmcnt(4)
	v_mul_f64 v[123:124], v[80:81], v[30:31]
	v_mul_f64 v[125:126], v[78:79], v[30:31]
	s_waitcnt vmcnt(2)
	v_mul_f64 v[127:128], v[84:85], v[34:35]
	v_mul_f64 v[129:130], v[82:83], v[34:35]
	s_waitcnt vmcnt(0)
	v_mul_f64 v[131:132], v[88:89], v[38:39]
	v_mul_f64 v[133:134], v[86:87], v[38:39]
	v_fma_f64 v[62:63], v[62:63], v[24:25], v[107:108]
	v_fma_f64 v[64:65], v[64:65], v[24:25], -v[109:110]
	v_fma_f64 v[66:67], v[66:67], v[12:13], v[111:112]
	v_fma_f64 v[68:69], v[68:69], v[12:13], -v[113:114]
	;; [unrolled: 2-line block ×7, first 2 shown]
	ds_write_b128 v190, v[46:49]
	ds_write_b128 v190, v[50:53] offset:1056
	ds_write_b128 v190, v[54:57] offset:2112
	;; [unrolled: 1-line block ×10, first 2 shown]
	s_waitcnt lgkmcnt(0)
	s_barrier
	buffer_gl0_inv
	ds_read_b128 v[52:55], v190
	ds_read_b128 v[60:63], v190 offset:1056
	ds_read_b128 v[56:59], v190 offset:2112
	ds_read_b128 v[66:69], v190 offset:3168
	s_waitcnt lgkmcnt(2)
	v_add_f64 v[44:45], v[52:53], v[60:61]
	v_add_f64 v[46:47], v[54:55], v[62:63]
	s_waitcnt lgkmcnt(1)
	v_add_f64 v[64:65], v[44:45], v[56:57]
	v_add_f64 v[86:87], v[46:47], v[58:59]
	ds_read_b128 v[44:47], v190 offset:10560
	ds_read_b128 v[70:73], v190 offset:5280
	;; [unrolled: 1-line block ×6, first 2 shown]
	s_waitcnt lgkmcnt(5)
	v_add_f64 v[94:95], v[62:63], -v[46:47]
	v_add_f64 v[90:91], v[64:65], v[66:67]
	v_add_f64 v[92:93], v[86:87], v[68:69]
	v_add_f64 v[97:98], v[60:61], -v[44:45]
	v_add_f64 v[99:100], v[60:61], v[44:45]
	v_add_f64 v[101:102], v[62:63], v[46:47]
	s_waitcnt lgkmcnt(3)
	v_add_f64 v[64:65], v[70:71], v[74:75]
	v_add_f64 v[60:61], v[72:73], v[76:77]
	v_add_f64 v[62:63], v[70:71], -v[74:75]
	v_add_f64 v[103:104], v[72:73], -v[76:77]
	ds_read_b128 v[86:89], v190 offset:8448
	s_waitcnt lgkmcnt(1)
	v_add_f64 v[109:110], v[58:59], -v[50:51]
	v_add_f64 v[111:112], v[56:57], -v[48:49]
	v_add_f64 v[56:57], v[56:57], v[48:49]
	v_add_f64 v[58:59], v[58:59], v[50:51]
	;; [unrolled: 1-line block ×4, first 2 shown]
	s_waitcnt lgkmcnt(0)
	s_barrier
	buffer_gl0_inv
	v_mul_f64 v[117:118], v[94:95], s[24:25]
	v_add_f64 v[90:91], v[90:91], v[78:79]
	v_add_f64 v[92:93], v[92:93], v[80:81]
	v_mul_f64 v[119:120], v[97:98], s[24:25]
	v_mul_f64 v[121:122], v[94:95], s[6:7]
	v_mul_f64 v[123:124], v[97:98], s[6:7]
	v_mul_f64 v[125:126], v[94:95], s[16:17]
	v_mul_f64 v[127:128], v[97:98], s[16:17]
	v_add_f64 v[113:114], v[68:69], -v[88:89]
	v_mul_f64 v[129:130], v[94:95], s[18:19]
	v_mul_f64 v[131:132], v[97:98], s[18:19]
	;; [unrolled: 1-line block ×6, first 2 shown]
	s_mov_b32 s7, 0x3fed1bb4
	v_add_f64 v[115:116], v[66:67], v[86:87]
	v_add_f64 v[66:67], v[66:67], -v[86:87]
	v_mul_f64 v[137:138], v[109:110], s[34:35]
	v_mul_f64 v[142:143], v[109:110], s[30:31]
	;; [unrolled: 1-line block ×5, first 2 shown]
	v_add_f64 v[70:71], v[90:91], v[70:71]
	v_add_f64 v[72:73], v[92:93], v[72:73]
	v_mul_f64 v[92:93], v[109:110], s[18:19]
	v_mul_f64 v[109:110], v[109:110], s[28:29]
	;; [unrolled: 1-line block ×3, first 2 shown]
	v_fma_f64 v[156:157], v[99:100], s[0:1], -v[117:118]
	v_fma_f64 v[158:159], v[101:102], s[0:1], v[119:120]
	v_mul_f64 v[90:91], v[113:114], s[16:17]
	v_mul_f64 v[150:151], v[113:114], s[34:35]
	;; [unrolled: 1-line block ×5, first 2 shown]
	v_fma_f64 v[117:118], v[99:100], s[0:1], v[117:118]
	v_fma_f64 v[119:120], v[101:102], s[0:1], -v[119:120]
	v_fma_f64 v[160:161], v[99:100], s[2:3], -v[121:122]
	v_fma_f64 v[162:163], v[101:102], s[2:3], v[123:124]
	v_fma_f64 v[164:165], v[99:100], s[20:21], -v[129:130]
	v_fma_f64 v[168:169], v[101:102], s[20:21], v[131:132]
	v_fma_f64 v[129:130], v[99:100], s[20:21], v[129:130]
	v_fma_f64 v[131:132], v[101:102], s[20:21], -v[131:132]
	v_fma_f64 v[170:171], v[99:100], s[26:27], -v[94:95]
	v_fma_f64 v[173:174], v[101:102], s[26:27], v[97:98]
	v_add_f64 v[70:71], v[70:71], v[74:75]
	v_add_f64 v[72:73], v[72:73], v[76:77]
	v_fma_f64 v[74:75], v[99:100], s[2:3], v[121:122]
	v_fma_f64 v[76:77], v[101:102], s[2:3], -v[123:124]
	v_fma_f64 v[121:122], v[99:100], s[12:13], -v[125:126]
	v_fma_f64 v[123:124], v[101:102], s[12:13], v[127:128]
	v_fma_f64 v[125:126], v[99:100], s[12:13], v[125:126]
	v_fma_f64 v[127:128], v[101:102], s[12:13], -v[127:128]
	v_fma_f64 v[94:95], v[99:100], s[26:27], v[94:95]
	v_fma_f64 v[97:98], v[101:102], s[26:27], -v[97:98]
	v_add_f64 v[78:79], v[78:79], -v[82:83]
	v_add_f64 v[80:81], v[80:81], -v[84:85]
	v_add_f64 v[68:69], v[68:69], v[88:89]
	v_fma_f64 v[99:100], v[56:57], s[2:3], -v[133:134]
	v_fma_f64 v[101:102], v[56:57], s[2:3], v[133:134]
	v_fma_f64 v[133:134], v[56:57], s[20:21], -v[92:93]
	v_fma_f64 v[92:93], v[56:57], s[20:21], v[92:93]
	;; [unrolled: 2-line block ×3, first 2 shown]
	v_add_f64 v[156:157], v[52:53], v[156:157]
	v_add_f64 v[158:159], v[54:55], v[158:159]
	;; [unrolled: 1-line block ×5, first 2 shown]
	v_fma_f64 v[82:83], v[56:57], s[12:13], -v[142:143]
	v_fma_f64 v[84:85], v[56:57], s[12:13], v[142:143]
	v_fma_f64 v[142:143], v[56:57], s[0:1], -v[109:110]
	v_fma_f64 v[56:57], v[56:57], s[0:1], v[109:110]
	v_fma_f64 v[109:110], v[58:59], s[2:3], v[135:136]
	v_fma_f64 v[135:136], v[58:59], s[2:3], -v[135:136]
	v_add_f64 v[119:120], v[54:55], v[119:120]
	v_add_f64 v[160:161], v[52:53], v[160:161]
	;; [unrolled: 1-line block ×17, first 2 shown]
	v_fma_f64 v[177:178], v[58:59], s[20:21], v[144:145]
	v_fma_f64 v[144:145], v[58:59], s[20:21], -v[144:145]
	v_fma_f64 v[179:180], v[58:59], s[26:27], v[146:147]
	v_fma_f64 v[146:147], v[58:59], s[26:27], -v[146:147]
	v_add_f64 v[52:53], v[70:71], v[86:87]
	v_add_f64 v[54:55], v[72:73], v[88:89]
	v_fma_f64 v[70:71], v[58:59], s[12:13], v[148:149]
	v_fma_f64 v[72:73], v[58:59], s[12:13], -v[148:149]
	v_fma_f64 v[86:87], v[58:59], s[0:1], v[111:112]
	v_fma_f64 v[58:59], v[58:59], s[0:1], -v[111:112]
	v_fma_f64 v[88:89], v[115:116], s[12:13], -v[90:91]
	v_fma_f64 v[90:91], v[115:116], s[12:13], v[90:91]
	v_fma_f64 v[111:112], v[115:116], s[26:27], -v[150:151]
	v_fma_f64 v[148:149], v[115:116], s[26:27], v[150:151]
	;; [unrolled: 2-line block ×5, first 2 shown]
	v_mul_f64 v[115:116], v[66:67], s[16:17]
	v_mul_f64 v[185:186], v[66:67], s[34:35]
	;; [unrolled: 1-line block ×11, first 2 shown]
	v_add_f64 v[99:100], v[99:100], v[156:157]
	v_add_f64 v[101:102], v[101:102], v[117:118]
	;; [unrolled: 1-line block ×9, first 2 shown]
	v_mul_f64 v[129:130], v[103:104], s[22:23]
	v_mul_f64 v[131:132], v[103:104], s[28:29]
	v_fma_f64 v[194:195], v[68:69], s[12:13], v[115:116]
	v_fma_f64 v[115:116], v[68:69], s[12:13], -v[115:116]
	v_fma_f64 v[196:197], v[68:69], s[26:27], v[185:186]
	v_fma_f64 v[185:186], v[68:69], s[26:27], -v[185:186]
	;; [unrolled: 2-line block ×5, first 2 shown]
	v_mul_f64 v[68:69], v[80:81], s[18:19]
	v_mul_f64 v[80:81], v[80:81], s[6:7]
	v_fma_f64 v[212:213], v[105:106], s[12:13], -v[204:205]
	v_fma_f64 v[204:205], v[105:106], s[12:13], v[204:205]
	v_fma_f64 v[214:215], v[105:106], s[0:1], -v[206:207]
	v_fma_f64 v[206:207], v[105:106], s[0:1], v[206:207]
	;; [unrolled: 2-line block ×3, first 2 shown]
	v_fma_f64 v[228:229], v[107:108], s[12:13], v[220:221]
	v_fma_f64 v[220:221], v[107:108], s[12:13], -v[220:221]
	v_fma_f64 v[230:231], v[107:108], s[0:1], v[222:223]
	v_fma_f64 v[222:223], v[107:108], s[0:1], -v[222:223]
	v_fma_f64 v[232:233], v[107:108], s[26:27], v[224:225]
	v_fma_f64 v[224:225], v[107:108], s[26:27], -v[224:225]
	v_mul_f64 v[133:134], v[103:104], s[18:19]
	v_add_f64 v[82:83], v[82:83], v[164:165]
	v_add_f64 v[70:71], v[70:71], v[168:169]
	v_add_f64 v[125:126], v[146:147], v[127:128]
	v_add_f64 v[127:128], v[142:143], v[170:171]
	v_add_f64 v[86:87], v[86:87], v[173:174]
	v_add_f64 v[56:57], v[56:57], v[94:95]
	v_add_f64 v[58:59], v[58:59], v[97:98]
	v_fma_f64 v[210:211], v[105:106], s[20:21], -v[68:69]
	v_fma_f64 v[68:69], v[105:106], s[20:21], v[68:69]
	v_fma_f64 v[218:219], v[105:106], s[2:3], -v[80:81]
	v_fma_f64 v[80:81], v[105:106], s[2:3], v[80:81]
	v_mul_f64 v[105:106], v[78:79], s[18:19]
	v_mul_f64 v[78:79], v[78:79], s[6:7]
	v_add_f64 v[76:77], v[144:145], v[76:77]
	v_add_f64 v[88:89], v[88:89], v[99:100]
	;; [unrolled: 1-line block ×3, first 2 shown]
	v_mul_f64 v[117:118], v[62:63], s[16:17]
	v_add_f64 v[90:91], v[90:91], v[101:102]
	v_fma_f64 v[137:138], v[64:65], s[26:27], -v[129:130]
	v_fma_f64 v[129:130], v[64:65], s[26:27], v[129:130]
	v_fma_f64 v[142:143], v[64:65], s[0:1], -v[131:132]
	v_fma_f64 v[131:132], v[64:65], s[0:1], v[131:132]
	;; [unrolled: 2-line block ×3, first 2 shown]
	v_add_f64 v[92:93], v[183:184], v[92:93]
	v_add_f64 v[82:83], v[150:151], v[82:83]
	;; [unrolled: 1-line block ×9, first 2 shown]
	v_fma_f64 v[226:227], v[107:108], s[20:21], v[105:106]
	v_fma_f64 v[105:106], v[107:108], s[20:21], -v[105:106]
	v_fma_f64 v[234:235], v[107:108], s[2:3], v[78:79]
	v_fma_f64 v[78:79], v[107:108], s[2:3], -v[78:79]
	v_add_f64 v[107:108], v[109:110], v[158:159]
	v_add_f64 v[109:110], v[135:136], v[119:120]
	;; [unrolled: 1-line block ×3, first 2 shown]
	v_mul_f64 v[135:136], v[103:104], s[16:17]
	v_mul_f64 v[103:104], v[103:104], s[6:7]
	v_add_f64 v[66:67], v[66:67], v[125:126]
	v_add_f64 v[74:75], v[148:149], v[74:75]
	;; [unrolled: 1-line block ×3, first 2 shown]
	v_fma_f64 v[125:126], v[60:61], s[12:13], v[117:118]
	v_fma_f64 v[117:118], v[60:61], s[12:13], -v[117:118]
	v_add_f64 v[68:69], v[68:69], v[90:91]
	v_add_f64 v[90:91], v[212:213], v[99:100]
	;; [unrolled: 1-line block ×13, first 2 shown]
	v_mul_f64 v[109:110], v[62:63], s[22:23]
	v_mul_f64 v[113:114], v[62:63], s[28:29]
	;; [unrolled: 1-line block ×4, first 2 shown]
	v_add_f64 v[101:102], v[196:197], v[119:120]
	v_fma_f64 v[146:147], v[64:65], s[12:13], -v[135:136]
	v_fma_f64 v[135:136], v[64:65], s[12:13], v[135:136]
	v_fma_f64 v[156:157], v[64:65], s[2:3], -v[103:104]
	v_fma_f64 v[64:65], v[64:65], s[2:3], v[103:104]
	v_add_f64 v[103:104], v[202:203], v[121:122]
	v_add_f64 v[152:153], v[222:223], v[66:67]
	;; [unrolled: 1-line block ×7, first 2 shown]
	v_fma_f64 v[119:120], v[60:61], s[26:27], v[109:110]
	v_fma_f64 v[109:110], v[60:61], s[26:27], -v[109:110]
	v_fma_f64 v[121:122], v[60:61], s[0:1], v[113:114]
	v_fma_f64 v[113:114], v[60:61], s[0:1], -v[113:114]
	;; [unrolled: 2-line block ×4, first 2 shown]
	v_add_f64 v[60:61], v[210:211], v[88:89]
	v_add_f64 v[62:63], v[226:227], v[94:95]
	;; [unrolled: 1-line block ×13, first 2 shown]
	v_and_b32_e32 v84, 0xffff, v139
	s_load_dwordx2 s[2:3], s[4:5], 0x38
	v_lshl_add_u32 v194, v84, 4, v191
	v_add_f64 v[48:49], v[137:138], v[60:61]
	v_add_f64 v[50:51], v[119:120], v[62:63]
	;; [unrolled: 1-line block ×15, first 2 shown]
	ds_write_b128 v194, v[48:51] offset:16
	ds_write_b128 v194, v[52:55] offset:32
	;; [unrolled: 1-line block ×10, first 2 shown]
	ds_write_b128 v194, v[44:47]
	s_waitcnt lgkmcnt(0)
	s_barrier
	buffer_gl0_inv
	ds_read_b128 v[76:79], v190
	ds_read_b128 v[116:119], v190 offset:1936
	ds_read_b128 v[84:87], v190 offset:3872
	;; [unrolled: 1-line block ×5, first 2 shown]
                                        ; implicit-def: $vgpr128_vgpr129
	s_and_saveexec_b32 s0, vcc_lo
	s_cbranch_execz .LBB0_3
; %bb.2:
	ds_read_b128 v[64:67], v190 offset:1056
	ds_read_b128 v[80:83], v190 offset:2992
	ds_read_b128 v[68:71], v190 offset:4928
	ds_read_b128 v[92:95], v190 offset:6864
	ds_read_b128 v[72:75], v190 offset:8800
	ds_read_b128 v[128:131], v190 offset:10736
.LBB0_3:
	s_or_b32 exec_lo, exec_lo, s0
	v_and_b32_e32 v44, 0xff, v189
	v_add_nc_u16 v45, v189, 0x42
	s_mov_b32 s0, 0xe8584caa
	s_mov_b32 s1, 0x3febb67a
	;; [unrolled: 1-line block ×3, first 2 shown]
	v_mul_lo_u16 v44, 0x75, v44
	v_and_b32_e32 v46, 0xff, v45
	s_mov_b32 s4, s0
	v_lshrrev_b16 v44, 8, v44
	v_mul_lo_u16 v46, 0x75, v46
	v_sub_nc_u16 v47, v189, v44
	v_lshrrev_b16 v46, 8, v46
	v_lshrrev_b16 v47, 1, v47
	v_sub_nc_u16 v48, v45, v46
	v_and_b32_e32 v47, 0x7f, v47
	v_lshrrev_b16 v48, 1, v48
	v_add_nc_u16 v44, v47, v44
	v_and_b32_e32 v47, 0x7f, v48
	v_lshrrev_b16 v183, 3, v44
	v_add_nc_u16 v44, v47, v46
	v_mul_lo_u16 v46, v183, 11
	v_lshrrev_b16 v192, 3, v44
	v_sub_nc_u16 v44, v189, v46
	v_mul_lo_u16 v46, v192, 11
	v_and_b32_e32 v184, 0xff, v44
	v_sub_nc_u16 v44, v45, v46
	v_mad_u64_u32 v[48:49], null, 0x50, v184, s[14:15]
	v_and_b32_e32 v193, 0xff, v44
	v_mad_u64_u32 v[50:51], null, 0x50, v193, s[14:15]
	s_clause 0x9
	global_load_dwordx4 v[96:99], v[48:49], off offset:32
	global_load_dwordx4 v[100:103], v[48:49], off offset:64
	;; [unrolled: 1-line block ×4, first 2 shown]
	global_load_dwordx4 v[104:107], v[48:49], off
	global_load_dwordx4 v[56:59], v[50:51], off
	global_load_dwordx4 v[112:115], v[48:49], off offset:16
	global_load_dwordx4 v[108:111], v[48:49], off offset:48
	;; [unrolled: 1-line block ×4, first 2 shown]
	s_waitcnt vmcnt(0) lgkmcnt(0)
	s_barrier
	buffer_gl0_inv
	v_mul_f64 v[132:133], v[122:123], v[98:99]
	v_mul_f64 v[134:135], v[120:121], v[98:99]
	;; [unrolled: 1-line block ×12, first 2 shown]
	v_fma_f64 v[120:121], v[120:121], v[96:97], -v[132:133]
	v_fma_f64 v[122:123], v[122:123], v[96:97], v[134:135]
	v_fma_f64 v[132:133], v[126:127], v[100:101], v[136:137]
	v_fma_f64 v[134:135], v[124:125], v[100:101], -v[138:139]
	v_mul_f64 v[136:137], v[82:83], v[58:59]
	v_mul_f64 v[138:139], v[80:81], v[58:59]
	v_fma_f64 v[124:125], v[92:93], v[44:45], -v[142:143]
	v_fma_f64 v[126:127], v[94:95], v[44:45], v[144:145]
	v_fma_f64 v[92:93], v[128:129], v[60:61], -v[146:147]
	v_fma_f64 v[94:95], v[130:131], v[60:61], v[148:149]
	v_mul_f64 v[128:129], v[86:87], v[114:115]
	v_mul_f64 v[130:131], v[84:85], v[114:115]
	;; [unrolled: 1-line block ×4, first 2 shown]
	v_fma_f64 v[146:147], v[116:117], v[104:105], -v[150:151]
	v_fma_f64 v[118:119], v[118:119], v[104:105], v[152:153]
	v_mul_f64 v[150:151], v[70:71], v[54:55]
	v_mul_f64 v[152:153], v[68:69], v[54:55]
	v_add_f64 v[116:117], v[122:123], v[132:133]
	v_add_f64 v[148:149], v[120:121], v[134:135]
	v_fma_f64 v[80:81], v[80:81], v[56:57], -v[136:137]
	v_fma_f64 v[82:83], v[82:83], v[56:57], v[138:139]
	v_add_f64 v[160:161], v[122:123], -v[132:133]
	v_add_f64 v[162:163], v[120:121], -v[134:135]
	v_add_f64 v[136:137], v[124:125], v[92:93]
	v_add_f64 v[138:139], v[126:127], v[94:95]
	v_fma_f64 v[158:159], v[84:85], v[112:113], -v[128:129]
	v_fma_f64 v[130:131], v[86:87], v[112:113], v[130:131]
	v_fma_f64 v[142:143], v[88:89], v[108:109], -v[142:143]
	v_fma_f64 v[144:145], v[90:91], v[108:109], v[144:145]
	v_add_f64 v[128:129], v[124:125], -v[92:93]
	v_add_f64 v[120:121], v[146:147], v[120:121]
	v_fma_f64 v[84:85], v[68:69], v[52:53], -v[150:151]
	v_fma_f64 v[86:87], v[70:71], v[52:53], v[152:153]
	v_fma_f64 v[68:69], v[72:73], v[48:49], -v[154:155]
	v_fma_f64 v[70:71], v[74:75], v[48:49], v[156:157]
	v_add_f64 v[122:123], v[118:119], v[122:123]
	v_fma_f64 v[164:165], v[116:117], -0.5, v[118:119]
	v_fma_f64 v[148:149], v[148:149], -0.5, v[146:147]
	v_add_f64 v[116:117], v[126:127], -v[94:95]
	v_fma_f64 v[88:89], v[136:137], -0.5, v[80:81]
	v_fma_f64 v[90:91], v[138:139], -0.5, v[82:83]
	v_add_f64 v[168:169], v[78:79], v[130:131]
	v_add_f64 v[72:73], v[158:159], v[142:143]
	;; [unrolled: 1-line block ×6, first 2 shown]
	v_add_f64 v[118:119], v[86:87], -v[70:71]
	v_add_f64 v[122:123], v[122:123], v[132:133]
	v_fma_f64 v[136:137], v[162:163], s[4:5], v[164:165]
	v_fma_f64 v[138:139], v[160:161], s[4:5], v[148:149]
	v_fma_f64 v[148:149], v[160:161], s[0:1], v[148:149]
	v_fma_f64 v[150:151], v[162:163], s[0:1], v[164:165]
	v_add_f64 v[162:163], v[76:77], v[158:159]
	v_add_f64 v[164:165], v[130:131], -v[144:145]
	v_fma_f64 v[156:157], v[116:117], s[4:5], v[88:89]
	v_fma_f64 v[160:161], v[128:129], s[0:1], v[90:91]
	v_add_f64 v[158:159], v[158:159], -v[142:143]
	v_add_f64 v[130:131], v[84:85], -v[68:69]
	v_fma_f64 v[146:147], v[72:73], -0.5, v[76:77]
	v_fma_f64 v[74:75], v[74:75], -0.5, v[78:79]
	v_add_f64 v[168:169], v[168:169], v[144:145]
	v_fma_f64 v[72:73], v[152:153], -0.5, v[64:65]
	v_fma_f64 v[76:77], v[154:155], -0.5, v[66:67]
	v_mul_f64 v[78:79], v[136:137], s[0:1]
	v_mul_f64 v[170:171], v[138:139], -0.5
	v_mul_f64 v[173:174], v[148:149], s[4:5]
	v_mul_f64 v[175:176], v[150:151], -0.5
	v_add_f64 v[162:163], v[162:163], v[142:143]
	v_mul_f64 v[152:153], v[156:157], -0.5
	v_mul_f64 v[154:155], v[160:161], -0.5
	v_fma_f64 v[177:178], v[164:165], s[0:1], v[146:147]
	v_fma_f64 v[179:180], v[158:159], s[4:5], v[74:75]
	;; [unrolled: 1-line block ×4, first 2 shown]
	v_add_f64 v[144:145], v[168:169], v[122:123]
	v_fma_f64 v[74:75], v[118:119], s[4:5], v[72:73]
	v_fma_f64 v[132:133], v[130:131], s[0:1], v[76:77]
	v_fma_f64 v[158:159], v[148:149], 0.5, v[78:79]
	v_fma_f64 v[170:171], v[150:151], s[0:1], v[170:171]
	v_fma_f64 v[173:174], v[136:137], 0.5, v[173:174]
	v_fma_f64 v[137:138], v[138:139], s[4:5], v[175:176]
	v_add_f64 v[142:143], v[162:163], v[120:121]
	v_add_f64 v[146:147], v[162:163], -v[120:121]
	v_fma_f64 v[78:79], v[160:161], s[0:1], v[152:153]
	v_fma_f64 v[134:135], v[156:157], s[4:5], v[154:155]
	v_add_f64 v[148:149], v[168:169], -v[122:123]
	v_mov_b32_e32 v136, 0x42
	v_add_f64 v[150:151], v[177:178], v[158:159]
	v_add_f64 v[154:155], v[164:165], v[170:171]
	v_add_f64 v[152:153], v[179:180], v[173:174]
	v_add_f64 v[156:157], v[181:182], v[137:138]
	v_add_f64 v[158:159], v[177:178], -v[158:159]
	v_add_f64 v[160:161], v[179:180], -v[173:174]
	;; [unrolled: 1-line block ×6, first 2 shown]
	v_mul_u32_u24_sdwa v137, v183, v136 dst_sel:DWORD dst_unused:UNUSED_PAD src0_sel:WORD_0 src1_sel:DWORD
	v_add_nc_u32_e32 v137, v137, v184
	v_lshl_add_u32 v195, v137, 4, v191
	ds_write_b128 v195, v[142:145]
	ds_write_b128 v195, v[150:153] offset:176
	ds_write_b128 v195, v[154:157] offset:352
	;; [unrolled: 1-line block ×5, first 2 shown]
	s_and_saveexec_b32 s4, vcc_lo
	s_cbranch_execz .LBB0_5
; %bb.4:
	v_mul_f64 v[116:117], v[116:117], s[0:1]
	v_mul_f64 v[128:129], v[128:129], s[0:1]
	v_add_f64 v[66:67], v[66:67], v[86:87]
	v_add_f64 v[82:83], v[82:83], v[126:127]
	;; [unrolled: 1-line block ×4, first 2 shown]
	v_mul_f64 v[84:85], v[130:131], s[0:1]
	v_add_f64 v[88:89], v[116:117], v[88:89]
	v_add_f64 v[90:91], v[90:91], -v[128:129]
	v_mul_f64 v[116:117], v[118:119], s[0:1]
	v_add_f64 v[124:125], v[66:67], v[70:71]
	v_add_f64 v[82:83], v[82:83], v[94:95]
	;; [unrolled: 1-line block ×4, first 2 shown]
	v_add_f64 v[76:77], v[76:77], -v[84:85]
	v_add_f64 v[66:67], v[132:133], v[134:135]
	v_add_f64 v[64:65], v[74:75], v[78:79]
	v_mul_f64 v[86:87], v[88:89], s[0:1]
	v_mul_f64 v[118:119], v[90:91], s[0:1]
	v_add_f64 v[74:75], v[124:125], v[82:83]
	v_add_f64 v[70:71], v[124:125], -v[82:83]
	v_add_f64 v[68:69], v[94:95], -v[80:81]
	v_fma_f64 v[84:85], v[90:91], 0.5, -v[86:87]
	v_add_f64 v[86:87], v[116:117], v[72:73]
	v_fma_f64 v[88:89], v[88:89], 0.5, v[118:119]
	v_add_f64 v[72:73], v[94:95], v[80:81]
	v_add_f64 v[82:83], v[76:77], v[84:85]
	v_add_f64 v[78:79], v[76:77], -v[84:85]
	v_add_f64 v[80:81], v[86:87], v[88:89]
	v_add_f64 v[76:77], v[86:87], -v[88:89]
	v_mul_u32_u24_sdwa v84, v192, v136 dst_sel:DWORD dst_unused:UNUSED_PAD src0_sel:WORD_0 src1_sel:DWORD
	v_add_nc_u32_e32 v84, v84, v193
	v_lshl_add_u32 v84, v84, 4, v191
	ds_write_b128 v84, v[64:67] offset:352
	ds_write_b128 v84, v[72:75]
	ds_write_b128 v84, v[68:71] offset:528
	ds_write_b128 v84, v[80:83] offset:176
	ds_write_b128 v84, v[76:79] offset:704
	ds_write_b128 v84, v[120:123] offset:880
.LBB0_5:
	s_or_b32 exec_lo, exec_lo, s4
	v_mad_u64_u32 v[181:182], null, 0xa0, v189, s[14:15]
	s_waitcnt lgkmcnt(0)
	s_barrier
	buffer_gl0_inv
	ds_read_b128 v[132:135], v190
	ds_read_b128 v[76:79], v190 offset:1056
	ds_read_b128 v[80:83], v190 offset:2112
	;; [unrolled: 1-line block ×10, first 2 shown]
	s_mov_b32 s20, 0xf8bb580b
	s_mov_b32 s14, 0x8eee2c13
	s_clause 0x3
	global_load_dwordx4 v[64:67], v[181:182], off offset:928
	global_load_dwordx4 v[68:71], v[181:182], off offset:912
	;; [unrolled: 1-line block ×4, first 2 shown]
	s_mov_b32 s4, 0x43842ef
	s_mov_b32 s22, 0xbb3a28a1
	;; [unrolled: 1-line block ×27, first 2 shown]
	s_waitcnt vmcnt(0) lgkmcnt(9)
	v_mul_f64 v[136:137], v[78:79], v[90:91]
	v_fma_f64 v[183:184], v[76:77], v[88:89], -v[136:137]
	v_mul_f64 v[76:77], v[76:77], v[90:91]
	v_fma_f64 v[185:186], v[78:79], v[88:89], v[76:77]
	s_waitcnt lgkmcnt(8)
	v_mul_f64 v[76:77], v[82:83], v[74:75]
	v_fma_f64 v[162:163], v[80:81], v[72:73], -v[76:77]
	v_mul_f64 v[76:77], v[80:81], v[74:75]
	v_fma_f64 v[160:161], v[82:83], v[72:73], v[76:77]
	s_waitcnt lgkmcnt(7)
	v_mul_f64 v[76:77], v[86:87], v[70:71]
	v_fma_f64 v[158:159], v[84:85], v[68:69], -v[76:77]
	v_mul_f64 v[76:77], v[84:85], v[70:71]
	v_fma_f64 v[152:153], v[86:87], v[68:69], v[76:77]
	s_waitcnt lgkmcnt(6)
	v_mul_f64 v[76:77], v[94:95], v[66:67]
	v_fma_f64 v[150:151], v[92:93], v[64:65], -v[76:77]
	v_mul_f64 v[76:77], v[92:93], v[66:67]
	v_fma_f64 v[142:143], v[94:95], v[64:65], v[76:77]
	s_clause 0x3
	global_load_dwordx4 v[84:87], v[181:182], off offset:992
	global_load_dwordx4 v[80:83], v[181:182], off offset:976
	;; [unrolled: 1-line block ×4, first 2 shown]
	s_waitcnt vmcnt(0) lgkmcnt(5)
	v_mul_f64 v[136:137], v[118:119], v[94:95]
	v_fma_f64 v[144:145], v[116:117], v[92:93], -v[136:137]
	v_mul_f64 v[116:117], v[116:117], v[94:95]
	v_fma_f64 v[136:137], v[118:119], v[92:93], v[116:117]
	s_waitcnt lgkmcnt(4)
	v_mul_f64 v[116:117], v[126:127], v[78:79]
	v_fma_f64 v[146:147], v[124:125], v[76:77], -v[116:117]
	v_mul_f64 v[116:117], v[124:125], v[78:79]
	v_fma_f64 v[138:139], v[126:127], v[76:77], v[116:117]
	s_waitcnt lgkmcnt(3)
	;; [unrolled: 5-line block ×3, first 2 shown]
	v_mul_f64 v[116:117], v[170:171], v[86:87]
	v_add_f64 v[130:131], v[134:135], v[185:186]
	v_fma_f64 v[164:165], v[168:169], v[84:85], -v[116:117]
	v_mul_f64 v[116:117], v[168:169], v[86:87]
	v_add_f64 v[130:131], v[130:131], v[160:161]
	v_fma_f64 v[156:157], v[170:171], v[84:85], v[116:117]
	s_clause 0x1
	global_load_dwordx4 v[116:119], v[181:182], off offset:1024
	global_load_dwordx4 v[124:127], v[181:182], off offset:1008
	v_add_f64 v[130:131], v[130:131], v[152:153]
	v_add_f64 v[130:131], v[130:131], v[142:143]
	;; [unrolled: 1-line block ×6, first 2 shown]
	s_waitcnt vmcnt(0) lgkmcnt(1)
	v_mul_f64 v[128:129], v[175:176], v[126:127]
	v_fma_f64 v[168:169], v[173:174], v[124:125], -v[128:129]
	v_mul_f64 v[128:129], v[173:174], v[126:127]
	v_fma_f64 v[170:171], v[175:176], v[124:125], v[128:129]
	s_waitcnt lgkmcnt(0)
	v_mul_f64 v[128:129], v[179:180], v[118:119]
	v_add_f64 v[130:131], v[130:131], v[170:171]
	v_fma_f64 v[173:174], v[177:178], v[116:117], -v[128:129]
	v_mul_f64 v[128:129], v[177:178], v[118:119]
	v_add_f64 v[177:178], v[183:184], v[173:174]
	v_fma_f64 v[175:176], v[179:180], v[116:117], v[128:129]
	v_add_f64 v[128:129], v[132:133], v[183:184]
	v_add_f64 v[130:131], v[130:131], v[175:176]
	;; [unrolled: 1-line block ×4, first 2 shown]
	v_add_f64 v[175:176], v[185:186], -v[175:176]
	v_add_f64 v[128:129], v[128:129], v[158:159]
	v_mul_f64 v[181:182], v[175:176], s[20:21]
	v_mul_f64 v[196:197], v[175:176], s[14:15]
	;; [unrolled: 1-line block ×5, first 2 shown]
	v_add_f64 v[128:129], v[128:129], v[150:151]
	v_fma_f64 v[198:199], v[177:178], s[12:13], -v[196:197]
	v_fma_f64 v[196:197], v[177:178], s[12:13], v[196:197]
	v_fma_f64 v[206:207], v[177:178], s[6:7], -v[204:205]
	v_fma_f64 v[204:205], v[177:178], s[6:7], v[204:205]
	;; [unrolled: 2-line block ×4, first 2 shown]
	v_add_f64 v[128:129], v[128:129], v[144:145]
	v_add_f64 v[198:199], v[132:133], v[198:199]
	;; [unrolled: 1-line block ×13, first 2 shown]
	v_add_f64 v[173:174], v[183:184], -v[173:174]
	v_fma_f64 v[183:184], v[177:178], s[16:17], -v[181:182]
	v_fma_f64 v[181:182], v[177:178], s[16:17], v[181:182]
	v_mul_f64 v[185:186], v[173:174], s[20:21]
	v_mul_f64 v[200:201], v[173:174], s[14:15]
	;; [unrolled: 1-line block ×5, first 2 shown]
	v_add_f64 v[183:184], v[132:133], v[183:184]
	v_add_f64 v[181:182], v[132:133], v[181:182]
	;; [unrolled: 1-line block ×4, first 2 shown]
	v_add_f64 v[160:161], v[160:161], -v[170:171]
	v_fma_f64 v[187:188], v[179:180], s[16:17], v[185:186]
	v_fma_f64 v[185:186], v[179:180], s[16:17], -v[185:186]
	v_fma_f64 v[202:203], v[179:180], s[12:13], v[200:201]
	v_fma_f64 v[200:201], v[179:180], s[12:13], -v[200:201]
	;; [unrolled: 2-line block ×5, first 2 shown]
	v_add_f64 v[187:188], v[134:135], v[187:188]
	v_add_f64 v[185:186], v[134:135], v[185:186]
	;; [unrolled: 1-line block ×11, first 2 shown]
	v_add_f64 v[162:163], v[162:163], -v[168:169]
	v_mul_f64 v[168:169], v[160:161], s[14:15]
	v_mul_f64 v[177:178], v[162:163], s[14:15]
	v_fma_f64 v[170:171], v[173:174], s[12:13], -v[168:169]
	v_fma_f64 v[168:169], v[173:174], s[12:13], v[168:169]
	v_fma_f64 v[179:180], v[175:176], s[12:13], v[177:178]
	v_add_f64 v[170:171], v[170:171], v[183:184]
	v_add_f64 v[168:169], v[168:169], v[181:182]
	v_mul_f64 v[181:182], v[160:161], s[22:23]
	v_fma_f64 v[177:178], v[175:176], s[12:13], -v[177:178]
	v_add_f64 v[179:180], v[179:180], v[187:188]
	v_fma_f64 v[183:184], v[173:174], s[24:25], -v[181:182]
	v_fma_f64 v[181:182], v[173:174], s[24:25], v[181:182]
	v_add_f64 v[177:178], v[177:178], v[185:186]
	v_mul_f64 v[185:186], v[162:163], s[22:23]
	v_add_f64 v[183:184], v[183:184], v[198:199]
	v_add_f64 v[181:182], v[181:182], v[196:197]
	v_mul_f64 v[196:197], v[160:161], s[36:37]
	v_fma_f64 v[187:188], v[175:176], s[24:25], v[185:186]
	v_fma_f64 v[185:186], v[175:176], s[24:25], -v[185:186]
	v_fma_f64 v[198:199], v[173:174], s[28:29], -v[196:197]
	v_fma_f64 v[196:197], v[173:174], s[28:29], v[196:197]
	v_add_f64 v[185:186], v[185:186], v[200:201]
	v_mul_f64 v[200:201], v[162:163], s[36:37]
	v_add_f64 v[187:188], v[187:188], v[202:203]
	v_add_f64 v[198:199], v[198:199], v[206:207]
	;; [unrolled: 1-line block ×3, first 2 shown]
	v_mul_f64 v[204:205], v[160:161], s[18:19]
	v_fma_f64 v[202:203], v[175:176], s[28:29], v[200:201]
	v_fma_f64 v[200:201], v[175:176], s[28:29], -v[200:201]
	v_mul_f64 v[160:161], v[160:161], s[30:31]
	v_fma_f64 v[206:207], v[173:174], s[6:7], -v[204:205]
	v_fma_f64 v[204:205], v[173:174], s[6:7], v[204:205]
	v_add_f64 v[200:201], v[200:201], v[208:209]
	v_mul_f64 v[208:209], v[162:163], s[18:19]
	v_mul_f64 v[162:163], v[162:163], s[30:31]
	v_add_f64 v[202:203], v[202:203], v[210:211]
	v_add_f64 v[206:207], v[206:207], v[214:215]
	;; [unrolled: 1-line block ×3, first 2 shown]
	v_fma_f64 v[212:213], v[173:174], s[16:17], -v[160:161]
	v_fma_f64 v[160:161], v[173:174], s[16:17], v[160:161]
	v_fma_f64 v[214:215], v[175:176], s[16:17], v[162:163]
	;; [unrolled: 1-line block ×3, first 2 shown]
	v_fma_f64 v[208:209], v[175:176], s[6:7], -v[208:209]
	v_add_f64 v[212:213], v[212:213], v[220:221]
	v_add_f64 v[132:133], v[160:161], v[132:133]
	v_fma_f64 v[160:161], v[175:176], s[16:17], -v[162:163]
	v_add_f64 v[162:163], v[152:153], v[156:157]
	v_add_f64 v[152:153], v[152:153], -v[156:157]
	v_add_f64 v[208:209], v[208:209], v[216:217]
	v_add_f64 v[210:211], v[210:211], v[218:219]
	;; [unrolled: 1-line block ×5, first 2 shown]
	v_mul_f64 v[156:157], v[152:153], s[4:5]
	v_add_f64 v[158:159], v[158:159], -v[164:165]
	v_fma_f64 v[164:165], v[160:161], s[6:7], -v[156:157]
	v_fma_f64 v[156:157], v[160:161], s[6:7], v[156:157]
	v_add_f64 v[164:165], v[164:165], v[170:171]
	v_mul_f64 v[170:171], v[158:159], s[4:5]
	v_add_f64 v[156:157], v[156:157], v[168:169]
	v_fma_f64 v[173:174], v[162:163], s[6:7], v[170:171]
	v_fma_f64 v[168:169], v[162:163], s[6:7], -v[170:171]
	v_mul_f64 v[170:171], v[152:153], s[36:37]
	v_add_f64 v[173:174], v[173:174], v[179:180]
	v_add_f64 v[168:169], v[168:169], v[177:178]
	v_fma_f64 v[175:176], v[160:161], s[28:29], -v[170:171]
	v_fma_f64 v[170:171], v[160:161], s[28:29], v[170:171]
	v_mul_f64 v[177:178], v[158:159], s[36:37]
	v_add_f64 v[175:176], v[175:176], v[183:184]
	v_add_f64 v[170:171], v[170:171], v[181:182]
	v_mul_f64 v[181:182], v[152:153], s[34:35]
	v_fma_f64 v[179:180], v[162:163], s[28:29], v[177:178]
	v_fma_f64 v[177:178], v[162:163], s[28:29], -v[177:178]
	v_fma_f64 v[183:184], v[160:161], s[12:13], -v[181:182]
	v_fma_f64 v[181:182], v[160:161], s[12:13], v[181:182]
	v_add_f64 v[177:178], v[177:178], v[185:186]
	v_mul_f64 v[185:186], v[158:159], s[34:35]
	v_add_f64 v[179:180], v[179:180], v[187:188]
	v_add_f64 v[183:184], v[183:184], v[198:199]
	;; [unrolled: 1-line block ×3, first 2 shown]
	v_mul_f64 v[196:197], v[152:153], s[20:21]
	v_fma_f64 v[187:188], v[162:163], s[12:13], v[185:186]
	v_fma_f64 v[185:186], v[162:163], s[12:13], -v[185:186]
	v_mul_f64 v[152:153], v[152:153], s[22:23]
	v_fma_f64 v[198:199], v[160:161], s[16:17], -v[196:197]
	v_fma_f64 v[196:197], v[160:161], s[16:17], v[196:197]
	v_add_f64 v[185:186], v[185:186], v[200:201]
	v_mul_f64 v[200:201], v[158:159], s[20:21]
	v_mul_f64 v[158:159], v[158:159], s[22:23]
	v_add_f64 v[187:188], v[187:188], v[202:203]
	v_add_f64 v[198:199], v[198:199], v[206:207]
	;; [unrolled: 1-line block ×3, first 2 shown]
	v_fma_f64 v[204:205], v[160:161], s[24:25], -v[152:153]
	v_fma_f64 v[152:153], v[160:161], s[24:25], v[152:153]
	v_fma_f64 v[202:203], v[162:163], s[16:17], v[200:201]
	v_fma_f64 v[200:201], v[162:163], s[16:17], -v[200:201]
	v_fma_f64 v[206:207], v[162:163], s[24:25], v[158:159]
	v_add_f64 v[204:205], v[204:205], v[212:213]
	v_add_f64 v[132:133], v[152:153], v[132:133]
	v_fma_f64 v[152:153], v[162:163], s[24:25], -v[158:159]
	v_add_f64 v[162:163], v[142:143], v[148:149]
	v_add_f64 v[142:143], v[142:143], -v[148:149]
	v_add_f64 v[200:201], v[200:201], v[208:209]
	v_add_f64 v[202:203], v[202:203], v[210:211]
	;; [unrolled: 1-line block ×5, first 2 shown]
	v_mul_f64 v[148:149], v[142:143], s[22:23]
	v_add_f64 v[150:151], v[150:151], -v[154:155]
	v_fma_f64 v[154:155], v[152:153], s[24:25], -v[148:149]
	v_fma_f64 v[148:149], v[152:153], s[24:25], v[148:149]
	v_add_f64 v[164:165], v[154:155], v[164:165]
	v_mul_f64 v[154:155], v[150:151], s[22:23]
	v_add_f64 v[208:209], v[148:149], v[156:157]
	v_fma_f64 v[148:149], v[162:163], s[24:25], -v[154:155]
	v_fma_f64 v[158:159], v[162:163], s[24:25], v[154:155]
	v_add_f64 v[168:169], v[148:149], v[168:169]
	v_mul_f64 v[148:149], v[142:143], s[18:19]
	v_add_f64 v[173:174], v[158:159], v[173:174]
	;; [unrolled: 5-line block ×5, first 2 shown]
	v_fma_f64 v[148:149], v[162:163], s[16:17], -v[154:155]
	v_fma_f64 v[156:157], v[162:163], s[16:17], v[154:155]
	v_add_f64 v[185:186], v[148:149], v[185:186]
	v_mul_f64 v[148:149], v[142:143], s[26:27]
	v_mul_f64 v[142:143], v[142:143], s[34:35]
	v_add_f64 v[187:188], v[156:157], v[187:188]
	v_fma_f64 v[154:155], v[152:153], s[28:29], -v[148:149]
	v_fma_f64 v[148:149], v[152:153], s[28:29], v[148:149]
	v_add_f64 v[198:199], v[154:155], v[198:199]
	v_mul_f64 v[154:155], v[150:151], s[26:27]
	v_add_f64 v[160:161], v[148:149], v[196:197]
	v_fma_f64 v[148:149], v[162:163], s[28:29], -v[154:155]
	v_fma_f64 v[156:157], v[162:163], s[28:29], v[154:155]
	v_add_f64 v[158:159], v[148:149], v[200:201]
	v_fma_f64 v[148:149], v[152:153], s[12:13], -v[142:143]
	v_add_f64 v[202:203], v[156:157], v[202:203]
	v_fma_f64 v[142:143], v[152:153], s[12:13], v[142:143]
	v_add_f64 v[152:153], v[144:145], v[146:147]
	v_add_f64 v[144:145], v[144:145], -v[146:147]
	v_add_f64 v[146:147], v[136:137], -v[138:139]
	v_add_f64 v[156:157], v[148:149], v[204:205]
	v_mul_f64 v[148:149], v[150:151], s[34:35]
	v_fma_f64 v[150:151], v[162:163], s[12:13], v[148:149]
	v_add_f64 v[154:155], v[150:151], v[206:207]
	v_add_f64 v[150:151], v[142:143], v[132:133]
	v_fma_f64 v[132:133], v[162:163], s[12:13], -v[148:149]
	v_add_f64 v[148:149], v[136:137], v[138:139]
	v_mul_f64 v[138:139], v[144:145], s[26:27]
	v_mul_f64 v[136:137], v[146:147], s[26:27]
	v_add_f64 v[142:143], v[132:133], v[134:135]
	v_fma_f64 v[134:135], v[148:149], s[28:29], v[138:139]
	v_fma_f64 v[138:139], v[148:149], s[28:29], -v[138:139]
	v_fma_f64 v[132:133], v[152:153], s[28:29], -v[136:137]
	v_fma_f64 v[136:137], v[152:153], s[28:29], v[136:137]
	v_add_f64 v[134:135], v[134:135], v[173:174]
	v_add_f64 v[138:139], v[138:139], v[168:169]
	v_mul_f64 v[168:169], v[146:147], s[30:31]
	v_mul_f64 v[173:174], v[144:145], s[30:31]
	v_add_f64 v[132:133], v[132:133], v[164:165]
	v_add_f64 v[136:137], v[136:137], v[208:209]
	v_fma_f64 v[162:163], v[152:153], s[16:17], -v[168:169]
	v_fma_f64 v[164:165], v[148:149], s[16:17], v[173:174]
	v_fma_f64 v[168:169], v[152:153], s[16:17], v[168:169]
	v_add_f64 v[162:163], v[162:163], v[175:176]
	v_add_f64 v[164:165], v[164:165], v[179:180]
	;; [unrolled: 1-line block ×3, first 2 shown]
	v_fma_f64 v[170:171], v[148:149], s[16:17], -v[173:174]
	v_mul_f64 v[179:180], v[144:145], s[22:23]
	v_add_f64 v[170:171], v[170:171], v[177:178]
	v_mul_f64 v[177:178], v[146:147], s[22:23]
	v_fma_f64 v[175:176], v[148:149], s[24:25], v[179:180]
	v_fma_f64 v[179:180], v[148:149], s[24:25], -v[179:180]
	v_fma_f64 v[173:174], v[152:153], s[24:25], -v[177:178]
	v_fma_f64 v[177:178], v[152:153], s[24:25], v[177:178]
	v_add_f64 v[179:180], v[179:180], v[185:186]
	v_mul_f64 v[185:186], v[146:147], s[34:35]
	v_add_f64 v[175:176], v[175:176], v[187:188]
	v_mul_f64 v[187:188], v[144:145], s[34:35]
	v_mul_f64 v[146:147], v[146:147], s[4:5]
	v_add_f64 v[173:174], v[173:174], v[183:184]
	v_add_f64 v[177:178], v[177:178], v[181:182]
	v_fma_f64 v[181:182], v[152:153], s[12:13], -v[185:186]
	v_fma_f64 v[185:186], v[152:153], s[12:13], v[185:186]
	v_fma_f64 v[183:184], v[148:149], s[12:13], v[187:188]
	v_add_f64 v[181:182], v[181:182], v[198:199]
	v_add_f64 v[185:186], v[185:186], v[160:161]
	v_fma_f64 v[160:161], v[148:149], s[12:13], -v[187:188]
	v_add_f64 v[183:184], v[183:184], v[202:203]
	v_add_f64 v[187:188], v[160:161], v[158:159]
	v_mul_f64 v[160:161], v[144:145], s[4:5]
	v_fma_f64 v[158:159], v[152:153], s[6:7], -v[146:147]
	v_fma_f64 v[144:145], v[148:149], s[6:7], v[160:161]
	v_add_f64 v[156:157], v[158:159], v[156:157]
	v_add_f64 v[158:159], v[144:145], v[154:155]
	v_fma_f64 v[144:145], v[152:153], s[6:7], v[146:147]
	v_fma_f64 v[146:147], v[148:149], s[6:7], -v[160:161]
	v_add_f64 v[144:145], v[144:145], v[150:151]
	v_add_f64 v[146:147], v[146:147], v[142:143]
	ds_write_b128 v190, v[128:131]
	ds_write_b128 v190, v[132:135] offset:1056
	ds_write_b128 v190, v[162:165] offset:2112
	;; [unrolled: 1-line block ×10, first 2 shown]
	s_waitcnt lgkmcnt(0)
	s_barrier
	buffer_gl0_inv
	global_load_dwordx4 v[132:135], v[140:141], off offset:1376
	ds_read_b128 v[128:131], v190
	v_add_co_u32 v142, s0, 0x2d60, v166
	v_add_co_ci_u32_e64 v143, s0, 0, v167, s0
	s_waitcnt vmcnt(0) lgkmcnt(0)
	v_mul_f64 v[136:137], v[130:131], v[134:135]
	v_fma_f64 v[136:137], v[128:129], v[132:133], -v[136:137]
	v_mul_f64 v[128:129], v[128:129], v[134:135]
	v_fma_f64 v[138:139], v[130:131], v[132:133], v[128:129]
	global_load_dwordx4 v[132:135], v[142:143], off offset:1056
	ds_read_b128 v[128:131], v190 offset:1056
	ds_write_b128 v190, v[136:139]
	s_waitcnt vmcnt(0) lgkmcnt(1)
	v_mul_f64 v[136:137], v[130:131], v[134:135]
	v_fma_f64 v[136:137], v[128:129], v[132:133], -v[136:137]
	v_mul_f64 v[128:129], v[128:129], v[134:135]
	v_fma_f64 v[138:139], v[130:131], v[132:133], v[128:129]
	v_add_co_u32 v132, s0, 0x3000, v166
	v_add_co_ci_u32_e64 v133, s0, 0, v167, s0
	ds_read_b128 v[128:131], v190 offset:2112
	v_add_co_u32 v140, s0, 0x3800, v166
	global_load_dwordx4 v[132:135], v[132:133], off offset:1440
	v_add_co_ci_u32_e64 v141, s0, 0, v167, s0
	ds_write_b128 v190, v[136:139] offset:1056
	s_waitcnt vmcnt(0) lgkmcnt(1)
	v_mul_f64 v[136:137], v[130:131], v[134:135]
	v_fma_f64 v[136:137], v[128:129], v[132:133], -v[136:137]
	v_mul_f64 v[128:129], v[128:129], v[134:135]
	v_fma_f64 v[138:139], v[130:131], v[132:133], v[128:129]
	global_load_dwordx4 v[132:135], v[140:141], off offset:448
	ds_read_b128 v[128:131], v190 offset:3168
	ds_write_b128 v190, v[136:139] offset:2112
	s_waitcnt vmcnt(0) lgkmcnt(1)
	v_mul_f64 v[136:137], v[130:131], v[134:135]
	v_fma_f64 v[136:137], v[128:129], v[132:133], -v[136:137]
	v_mul_f64 v[128:129], v[128:129], v[134:135]
	v_fma_f64 v[138:139], v[130:131], v[132:133], v[128:129]
	global_load_dwordx4 v[132:135], v[140:141], off offset:1504
	ds_read_b128 v[128:131], v190 offset:4224
	v_add_co_u32 v140, s0, 0x4000, v166
	v_add_co_ci_u32_e64 v141, s0, 0, v167, s0
	ds_write_b128 v190, v[136:139] offset:3168
	s_waitcnt vmcnt(0) lgkmcnt(1)
	v_mul_f64 v[136:137], v[130:131], v[134:135]
	v_fma_f64 v[136:137], v[128:129], v[132:133], -v[136:137]
	v_mul_f64 v[128:129], v[128:129], v[134:135]
	v_fma_f64 v[138:139], v[130:131], v[132:133], v[128:129]
	global_load_dwordx4 v[132:135], v[140:141], off offset:512
	ds_read_b128 v[128:131], v190 offset:5280
	ds_write_b128 v190, v[136:139] offset:4224
	s_waitcnt vmcnt(0) lgkmcnt(1)
	v_mul_f64 v[136:137], v[130:131], v[134:135]
	v_fma_f64 v[136:137], v[128:129], v[132:133], -v[136:137]
	v_mul_f64 v[128:129], v[128:129], v[134:135]
	v_fma_f64 v[138:139], v[130:131], v[132:133], v[128:129]
	global_load_dwordx4 v[132:135], v[140:141], off offset:1568
	ds_read_b128 v[128:131], v190 offset:6336
	v_add_co_u32 v140, s0, 0x4800, v166
	;; [unrolled: 18-line block ×3, first 2 shown]
	v_add_co_ci_u32_e64 v141, s0, 0, v167, s0
	s_mov_b32 s0, s22
	ds_write_b128 v190, v[136:139] offset:7392
	s_waitcnt vmcnt(0) lgkmcnt(1)
	v_mul_f64 v[136:137], v[130:131], v[134:135]
	v_fma_f64 v[136:137], v[128:129], v[132:133], -v[136:137]
	v_mul_f64 v[128:129], v[128:129], v[134:135]
	v_fma_f64 v[138:139], v[130:131], v[132:133], v[128:129]
	global_load_dwordx4 v[132:135], v[140:141], off offset:640
	ds_read_b128 v[128:131], v190 offset:9504
	ds_write_b128 v190, v[136:139] offset:8448
	s_waitcnt vmcnt(0) lgkmcnt(1)
	v_mul_f64 v[136:137], v[130:131], v[134:135]
	v_fma_f64 v[136:137], v[128:129], v[132:133], -v[136:137]
	v_mul_f64 v[128:129], v[128:129], v[134:135]
	v_fma_f64 v[138:139], v[130:131], v[132:133], v[128:129]
	global_load_dwordx4 v[132:135], v[140:141], off offset:1696
	ds_read_b128 v[128:131], v190 offset:10560
	ds_write_b128 v190, v[136:139] offset:9504
	s_waitcnt vmcnt(0) lgkmcnt(1)
	v_mul_f64 v[136:137], v[130:131], v[134:135]
	v_fma_f64 v[136:137], v[128:129], v[132:133], -v[136:137]
	v_mul_f64 v[128:129], v[128:129], v[134:135]
	v_fma_f64 v[138:139], v[130:131], v[132:133], v[128:129]
	ds_write_b128 v190, v[136:139] offset:10560
	s_waitcnt lgkmcnt(0)
	s_barrier
	buffer_gl0_inv
	ds_read_b128 v[140:143], v190
	ds_read_b128 v[144:147], v190 offset:1056
	ds_read_b128 v[148:151], v190 offset:2112
	;; [unrolled: 1-line block ×10, first 2 shown]
	s_waitcnt lgkmcnt(0)
	s_barrier
	buffer_gl0_inv
	v_add_f64 v[128:129], v[140:141], v[144:145]
	v_add_f64 v[130:131], v[142:143], v[146:147]
	v_add_f64 v[179:180], v[146:147], v[175:176]
	v_add_f64 v[146:147], v[146:147], -v[175:176]
	v_add_f64 v[177:178], v[144:145], v[173:174]
	v_add_f64 v[144:145], v[144:145], -v[173:174]
	v_add_f64 v[128:129], v[128:129], v[148:149]
	v_add_f64 v[130:131], v[130:131], v[150:151]
	v_mul_f64 v[181:182], v[179:180], s[16:17]
	v_mul_f64 v[185:186], v[146:147], s[14:15]
	;; [unrolled: 1-line block ×8, first 2 shown]
	v_add_f64 v[128:129], v[128:129], v[152:153]
	v_add_f64 v[130:131], v[130:131], v[154:155]
	v_fma_f64 v[183:184], v[144:145], s[30:31], v[181:182]
	v_fma_f64 v[187:188], v[177:178], s[12:13], v[185:186]
	v_fma_f64 v[185:186], v[177:178], s[12:13], -v[185:186]
	v_fma_f64 v[202:203], v[177:178], s[6:7], v[200:201]
	v_fma_f64 v[200:201], v[177:178], s[6:7], -v[200:201]
	;; [unrolled: 2-line block ×3, first 2 shown]
	v_fma_f64 v[181:182], v[144:145], s[20:21], v[181:182]
	v_fma_f64 v[198:199], v[144:145], s[34:35], v[196:197]
	;; [unrolled: 1-line block ×6, first 2 shown]
	v_add_f64 v[128:129], v[128:129], v[156:157]
	v_add_f64 v[130:131], v[130:131], v[158:159]
	v_fma_f64 v[212:213], v[144:145], s[22:23], v[212:213]
	v_fma_f64 v[218:219], v[144:145], s[36:37], v[179:180]
	;; [unrolled: 1-line block ×3, first 2 shown]
	v_add_f64 v[183:184], v[142:143], v[183:184]
	v_add_f64 v[187:188], v[140:141], v[187:188]
	;; [unrolled: 1-line block ×19, first 2 shown]
	v_add_f64 v[148:149], v[148:149], -v[168:169]
	v_add_f64 v[128:129], v[128:129], v[136:137]
	v_add_f64 v[130:131], v[130:131], v[138:139]
	;; [unrolled: 1-line block ×9, first 2 shown]
	v_mul_f64 v[173:174], v[146:147], s[20:21]
	v_mul_f64 v[146:147], v[146:147], s[26:27]
	v_add_f64 v[130:131], v[130:131], v[175:176]
	v_fma_f64 v[175:176], v[177:178], s[16:17], v[173:174]
	v_fma_f64 v[173:174], v[177:178], s[16:17], -v[173:174]
	v_fma_f64 v[216:217], v[177:178], s[28:29], v[146:147]
	v_fma_f64 v[146:147], v[177:178], s[28:29], -v[146:147]
	v_add_f64 v[175:176], v[140:141], v[175:176]
	v_add_f64 v[173:174], v[140:141], v[173:174]
	;; [unrolled: 1-line block ×5, first 2 shown]
	v_add_f64 v[150:151], v[150:151], -v[170:171]
	v_mul_f64 v[168:169], v[150:151], s[14:15]
	v_fma_f64 v[170:171], v[144:145], s[12:13], v[168:169]
	v_fma_f64 v[168:169], v[144:145], s[12:13], -v[168:169]
	v_add_f64 v[170:171], v[170:171], v[175:176]
	v_mul_f64 v[175:176], v[146:147], s[12:13]
	v_add_f64 v[168:169], v[168:169], v[173:174]
	v_fma_f64 v[177:178], v[148:149], s[34:35], v[175:176]
	v_fma_f64 v[173:174], v[148:149], s[14:15], v[175:176]
	v_mul_f64 v[175:176], v[150:151], s[22:23]
	v_add_f64 v[177:178], v[177:178], v[183:184]
	v_add_f64 v[173:174], v[173:174], v[181:182]
	v_fma_f64 v[179:180], v[144:145], s[24:25], v[175:176]
	v_fma_f64 v[175:176], v[144:145], s[24:25], -v[175:176]
	v_mul_f64 v[181:182], v[146:147], s[24:25]
	v_add_f64 v[179:180], v[179:180], v[187:188]
	v_add_f64 v[175:176], v[175:176], v[185:186]
	v_mul_f64 v[185:186], v[150:151], s[36:37]
	v_fma_f64 v[183:184], v[148:149], s[0:1], v[181:182]
	v_fma_f64 v[181:182], v[148:149], s[22:23], v[181:182]
	;; [unrolled: 1-line block ×3, first 2 shown]
	v_fma_f64 v[185:186], v[144:145], s[28:29], -v[185:186]
	v_add_f64 v[181:182], v[181:182], v[196:197]
	v_mul_f64 v[196:197], v[146:147], s[28:29]
	v_add_f64 v[183:184], v[183:184], v[198:199]
	v_add_f64 v[187:188], v[187:188], v[202:203]
	;; [unrolled: 1-line block ×3, first 2 shown]
	v_mul_f64 v[200:201], v[150:151], s[18:19]
	v_fma_f64 v[198:199], v[148:149], s[26:27], v[196:197]
	v_fma_f64 v[196:197], v[148:149], s[36:37], v[196:197]
	v_mul_f64 v[150:151], v[150:151], s[30:31]
	v_fma_f64 v[202:203], v[144:145], s[6:7], v[200:201]
	v_fma_f64 v[200:201], v[144:145], s[6:7], -v[200:201]
	v_add_f64 v[196:197], v[196:197], v[204:205]
	v_mul_f64 v[204:205], v[146:147], s[6:7]
	v_mul_f64 v[146:147], v[146:147], s[16:17]
	v_add_f64 v[198:199], v[198:199], v[206:207]
	v_add_f64 v[202:203], v[202:203], v[210:211]
	;; [unrolled: 1-line block ×3, first 2 shown]
	v_fma_f64 v[208:209], v[144:145], s[16:17], v[150:151]
	v_fma_f64 v[144:145], v[144:145], s[16:17], -v[150:151]
	v_add_f64 v[150:151], v[154:155], -v[166:167]
	v_fma_f64 v[206:207], v[148:149], s[4:5], v[204:205]
	v_fma_f64 v[204:205], v[148:149], s[18:19], v[204:205]
	v_fma_f64 v[210:211], v[148:149], s[20:21], v[146:147]
	v_add_f64 v[208:209], v[208:209], v[216:217]
	v_add_f64 v[140:141], v[144:145], v[140:141]
	v_fma_f64 v[144:145], v[148:149], s[30:31], v[146:147]
	v_add_f64 v[146:147], v[154:155], v[166:167]
	v_add_f64 v[148:149], v[152:153], -v[164:165]
	v_add_f64 v[204:205], v[204:205], v[212:213]
	v_add_f64 v[206:207], v[206:207], v[214:215]
	;; [unrolled: 1-line block ×3, first 2 shown]
	v_add_f64 v[216:217], v[158:159], -v[162:163]
	v_add_f64 v[212:213], v[158:159], v[162:163]
	v_add_f64 v[214:215], v[156:157], -v[160:161]
	v_add_f64 v[142:143], v[144:145], v[142:143]
	v_add_f64 v[144:145], v[152:153], v[164:165]
	v_mul_f64 v[152:153], v[150:151], s[4:5]
	v_mul_f64 v[164:165], v[146:147], s[6:7]
	v_fma_f64 v[154:155], v[144:145], s[6:7], v[152:153]
	v_fma_f64 v[152:153], v[144:145], s[6:7], -v[152:153]
	v_fma_f64 v[166:167], v[148:149], s[18:19], v[164:165]
	v_add_f64 v[154:155], v[154:155], v[170:171]
	v_add_f64 v[168:169], v[152:153], v[168:169]
	v_fma_f64 v[152:153], v[148:149], s[4:5], v[164:165]
	v_add_f64 v[166:167], v[166:167], v[177:178]
	v_add_f64 v[164:165], v[152:153], v[173:174]
	v_mul_f64 v[152:153], v[150:151], s[36:37]
	v_mul_f64 v[173:174], v[146:147], s[28:29]
	v_fma_f64 v[170:171], v[144:145], s[28:29], v[152:153]
	v_fma_f64 v[152:153], v[144:145], s[28:29], -v[152:153]
	v_fma_f64 v[177:178], v[148:149], s[26:27], v[173:174]
	v_add_f64 v[170:171], v[170:171], v[179:180]
	v_add_f64 v[175:176], v[152:153], v[175:176]
	v_fma_f64 v[152:153], v[148:149], s[36:37], v[173:174]
	v_add_f64 v[183:184], v[177:178], v[183:184]
	v_add_f64 v[173:174], v[152:153], v[181:182]
	v_mul_f64 v[152:153], v[150:151], s[34:35]
	v_fma_f64 v[177:178], v[144:145], s[12:13], v[152:153]
	v_fma_f64 v[152:153], v[144:145], s[12:13], -v[152:153]
	v_add_f64 v[181:182], v[177:178], v[187:188]
	v_mul_f64 v[177:178], v[146:147], s[12:13]
	v_add_f64 v[185:186], v[152:153], v[185:186]
	v_fma_f64 v[152:153], v[148:149], s[34:35], v[177:178]
	v_fma_f64 v[179:180], v[148:149], s[14:15], v[177:178]
	v_add_f64 v[196:197], v[152:153], v[196:197]
	v_mul_f64 v[152:153], v[150:151], s[20:21]
	v_add_f64 v[187:188], v[179:180], v[198:199]
	v_mul_f64 v[150:151], v[150:151], s[22:23]
	v_fma_f64 v[177:178], v[144:145], s[16:17], v[152:153]
	v_fma_f64 v[152:153], v[144:145], s[16:17], -v[152:153]
	v_add_f64 v[198:199], v[177:178], v[202:203]
	v_mul_f64 v[177:178], v[146:147], s[16:17]
	v_add_f64 v[200:201], v[152:153], v[200:201]
	v_mul_f64 v[146:147], v[146:147], s[24:25]
	v_fma_f64 v[152:153], v[148:149], s[20:21], v[177:178]
	v_fma_f64 v[179:180], v[148:149], s[30:31], v[177:178]
	v_add_f64 v[204:205], v[152:153], v[204:205]
	v_fma_f64 v[152:153], v[144:145], s[24:25], v[150:151]
	v_fma_f64 v[144:145], v[144:145], s[24:25], -v[150:151]
	v_add_f64 v[202:203], v[179:180], v[206:207]
	v_add_f64 v[206:207], v[152:153], v[208:209]
	v_fma_f64 v[152:153], v[148:149], s[0:1], v[146:147]
	v_add_f64 v[150:151], v[144:145], v[140:141]
	v_fma_f64 v[140:141], v[148:149], s[22:23], v[146:147]
	v_add_f64 v[148:149], v[156:157], v[160:161]
	v_add_f64 v[208:209], v[152:153], v[210:211]
	;; [unrolled: 1-line block ×3, first 2 shown]
	v_mul_f64 v[140:141], v[216:217], s[22:23]
	v_fma_f64 v[142:143], v[148:149], s[24:25], v[140:141]
	v_fma_f64 v[140:141], v[148:149], s[24:25], -v[140:141]
	v_add_f64 v[152:153], v[142:143], v[154:155]
	v_mul_f64 v[142:143], v[212:213], s[24:25]
	v_add_f64 v[177:178], v[140:141], v[168:169]
	v_fma_f64 v[140:141], v[214:215], s[22:23], v[142:143]
	v_fma_f64 v[144:145], v[214:215], s[0:1], v[142:143]
	v_add_f64 v[179:180], v[140:141], v[164:165]
	v_mul_f64 v[140:141], v[216:217], s[18:19]
	v_add_f64 v[154:155], v[144:145], v[166:167]
	v_fma_f64 v[142:143], v[148:149], s[6:7], v[140:141]
	v_fma_f64 v[140:141], v[148:149], s[6:7], -v[140:141]
	v_add_f64 v[156:157], v[142:143], v[170:171]
	v_mul_f64 v[142:143], v[212:213], s[6:7]
	v_add_f64 v[175:176], v[140:141], v[175:176]
	v_fma_f64 v[140:141], v[214:215], s[18:19], v[142:143]
	v_fma_f64 v[144:145], v[214:215], s[4:5], v[142:143]
	v_add_f64 v[173:174], v[140:141], v[173:174]
	v_mul_f64 v[140:141], v[216:217], s[20:21]
	v_add_f64 v[158:159], v[144:145], v[183:184]
	v_mul_f64 v[183:184], v[212:213], s[12:13]
	v_fma_f64 v[142:143], v[148:149], s[16:17], v[140:141]
	v_fma_f64 v[140:141], v[148:149], s[16:17], -v[140:141]
	v_add_f64 v[160:161], v[142:143], v[181:182]
	v_mul_f64 v[142:143], v[212:213], s[16:17]
	v_mul_f64 v[181:182], v[216:217], s[34:35]
	v_add_f64 v[140:141], v[140:141], v[185:186]
	v_add_f64 v[185:186], v[134:135], v[138:139]
	v_fma_f64 v[144:145], v[214:215], s[30:31], v[142:143]
	v_fma_f64 v[142:143], v[214:215], s[20:21], v[142:143]
	v_add_f64 v[162:163], v[144:145], v[187:188]
	v_mul_f64 v[144:145], v[216:217], s[26:27]
	v_add_f64 v[187:188], v[134:135], -v[138:139]
	v_add_f64 v[142:143], v[142:143], v[196:197]
	v_fma_f64 v[146:147], v[148:149], s[28:29], v[144:145]
	v_fma_f64 v[144:145], v[148:149], s[28:29], -v[144:145]
	v_add_f64 v[168:169], v[146:147], v[198:199]
	v_mul_f64 v[146:147], v[212:213], s[28:29]
	v_add_f64 v[144:145], v[144:145], v[200:201]
	v_fma_f64 v[164:165], v[214:215], s[36:37], v[146:147]
	v_fma_f64 v[146:147], v[214:215], s[26:27], v[146:147]
	v_add_f64 v[170:171], v[164:165], v[202:203]
	v_fma_f64 v[164:165], v[148:149], s[12:13], v[181:182]
	v_fma_f64 v[148:149], v[148:149], s[12:13], -v[181:182]
	v_add_f64 v[181:182], v[132:133], -v[136:137]
	v_add_f64 v[146:147], v[146:147], v[204:205]
	v_add_f64 v[166:167], v[164:165], v[206:207]
	v_fma_f64 v[164:165], v[214:215], s[14:15], v[183:184]
	v_add_f64 v[148:149], v[148:149], v[150:151]
	v_fma_f64 v[150:151], v[214:215], s[34:35], v[183:184]
	v_add_f64 v[183:184], v[132:133], v[136:137]
	v_mul_f64 v[132:133], v[187:188], s[26:27]
	v_add_f64 v[164:165], v[164:165], v[208:209]
	v_add_f64 v[150:151], v[150:151], v[210:211]
	v_fma_f64 v[134:135], v[183:184], s[28:29], v[132:133]
	v_fma_f64 v[132:133], v[183:184], s[28:29], -v[132:133]
	v_add_f64 v[152:153], v[134:135], v[152:153]
	v_mul_f64 v[134:135], v[185:186], s[28:29]
	v_add_f64 v[132:133], v[132:133], v[177:178]
	v_fma_f64 v[136:137], v[181:182], s[36:37], v[134:135]
	v_fma_f64 v[134:135], v[181:182], s[26:27], v[134:135]
	v_add_f64 v[154:155], v[136:137], v[154:155]
	v_mul_f64 v[136:137], v[187:188], s[30:31]
	v_add_f64 v[134:135], v[134:135], v[179:180]
	v_fma_f64 v[138:139], v[183:184], s[16:17], v[136:137]
	v_fma_f64 v[136:137], v[183:184], s[16:17], -v[136:137]
	v_add_f64 v[156:157], v[138:139], v[156:157]
	v_mul_f64 v[138:139], v[185:186], s[16:17]
	v_add_f64 v[136:137], v[136:137], v[175:176]
	v_fma_f64 v[177:178], v[181:182], s[20:21], v[138:139]
	v_fma_f64 v[138:139], v[181:182], s[30:31], v[138:139]
	v_add_f64 v[158:159], v[177:178], v[158:159]
	v_add_f64 v[138:139], v[138:139], v[173:174]
	v_mul_f64 v[173:174], v[187:188], s[22:23]
	v_fma_f64 v[175:176], v[183:184], s[24:25], v[173:174]
	v_fma_f64 v[173:174], v[183:184], s[24:25], -v[173:174]
	v_add_f64 v[160:161], v[175:176], v[160:161]
	v_mul_f64 v[175:176], v[185:186], s[24:25]
	v_add_f64 v[140:141], v[173:174], v[140:141]
	v_fma_f64 v[173:174], v[181:182], s[22:23], v[175:176]
	v_fma_f64 v[177:178], v[181:182], s[0:1], v[175:176]
	v_add_f64 v[142:143], v[173:174], v[142:143]
	v_mul_f64 v[173:174], v[187:188], s[34:35]
	v_add_f64 v[162:163], v[177:178], v[162:163]
	v_fma_f64 v[175:176], v[183:184], s[12:13], v[173:174]
	v_fma_f64 v[173:174], v[183:184], s[12:13], -v[173:174]
	v_add_f64 v[168:169], v[175:176], v[168:169]
	v_mul_f64 v[175:176], v[185:186], s[12:13]
	v_add_f64 v[144:145], v[173:174], v[144:145]
	v_fma_f64 v[177:178], v[181:182], s[14:15], v[175:176]
	v_fma_f64 v[173:174], v[181:182], s[34:35], v[175:176]
	v_add_f64 v[170:171], v[177:178], v[170:171]
	v_mul_f64 v[177:178], v[187:188], s[4:5]
	v_add_f64 v[146:147], v[173:174], v[146:147]
	v_fma_f64 v[173:174], v[183:184], s[6:7], v[177:178]
	v_add_f64 v[173:174], v[173:174], v[166:167]
	v_mul_f64 v[166:167], v[185:186], s[6:7]
	v_fma_f64 v[175:176], v[181:182], s[18:19], v[166:167]
	v_add_f64 v[175:176], v[175:176], v[164:165]
	v_fma_f64 v[164:165], v[183:184], s[6:7], -v[177:178]
	v_add_f64 v[148:149], v[164:165], v[148:149]
	v_fma_f64 v[164:165], v[181:182], s[4:5], v[166:167]
	v_add_f64 v[150:151], v[164:165], v[150:151]
	ds_write_b128 v194, v[128:131]
	ds_write_b128 v194, v[152:155] offset:16
	ds_write_b128 v194, v[156:159] offset:32
	;; [unrolled: 1-line block ×10, first 2 shown]
	s_waitcnt lgkmcnt(0)
	s_barrier
	buffer_gl0_inv
	ds_read_b128 v[128:131], v190
	ds_read_b128 v[152:155], v190 offset:1936
	ds_read_b128 v[156:159], v190 offset:3872
	;; [unrolled: 1-line block ×5, first 2 shown]
	s_and_saveexec_b32 s0, vcc_lo
	s_cbranch_execz .LBB0_7
; %bb.6:
	ds_read_b128 v[148:151], v190 offset:1056
	ds_read_b128 v[144:147], v190 offset:2992
	;; [unrolled: 1-line block ×6, first 2 shown]
.LBB0_7:
	s_or_b32 exec_lo, exec_lo, s0
	s_waitcnt lgkmcnt(2)
	v_mul_f64 v[173:174], v[98:99], v[164:165]
	s_waitcnt lgkmcnt(0)
	v_mul_f64 v[175:176], v[102:103], v[168:169]
	v_mul_f64 v[177:178], v[106:107], v[152:153]
	;; [unrolled: 1-line block ×5, first 2 shown]
	s_mov_b32 s0, 0xe8584caa
	s_mov_b32 s1, 0xbfebb67a
	;; [unrolled: 1-line block ×4, first 2 shown]
	s_barrier
	buffer_gl0_inv
	v_fma_f64 v[166:167], v[96:97], v[166:167], -v[173:174]
	v_fma_f64 v[170:171], v[100:101], v[170:171], -v[175:176]
	v_mul_f64 v[173:174], v[114:115], v[158:159]
	v_mul_f64 v[114:115], v[114:115], v[156:157]
	v_mul_f64 v[175:176], v[110:111], v[162:163]
	v_mul_f64 v[110:111], v[110:111], v[160:161]
	v_fma_f64 v[96:97], v[96:97], v[164:165], v[98:99]
	v_fma_f64 v[98:99], v[100:101], v[168:169], v[102:103]
	v_fma_f64 v[100:101], v[104:105], v[154:155], -v[177:178]
	v_fma_f64 v[104:105], v[104:105], v[152:153], v[106:107]
	v_add_f64 v[102:103], v[166:167], v[170:171]
	v_fma_f64 v[154:155], v[112:113], v[156:157], v[173:174]
	v_fma_f64 v[112:113], v[112:113], v[158:159], -v[114:115]
	v_fma_f64 v[114:115], v[108:109], v[160:161], v[175:176]
	v_fma_f64 v[108:109], v[108:109], v[162:163], -v[110:111]
	v_add_f64 v[158:159], v[166:167], -v[170:171]
	v_add_f64 v[106:107], v[96:97], v[98:99]
	v_add_f64 v[110:111], v[96:97], -v[98:99]
	v_add_f64 v[96:97], v[104:105], v[96:97]
	v_fma_f64 v[102:103], v[102:103], -0.5, v[100:101]
	v_add_f64 v[100:101], v[100:101], v[166:167]
	v_add_f64 v[152:153], v[154:155], v[114:115]
	;; [unrolled: 1-line block ×3, first 2 shown]
	v_add_f64 v[162:163], v[112:113], -v[108:109]
	v_fma_f64 v[106:107], v[106:107], -0.5, v[104:105]
	v_add_f64 v[112:113], v[130:131], v[112:113]
	v_fma_f64 v[160:161], v[110:111], s[4:5], v[102:103]
	v_fma_f64 v[102:103], v[110:111], s[0:1], v[102:103]
	v_add_f64 v[110:111], v[128:129], v[154:155]
	v_add_f64 v[154:155], v[154:155], -v[114:115]
	v_fma_f64 v[104:105], v[152:153], -0.5, v[128:129]
	v_fma_f64 v[128:129], v[156:157], -0.5, v[130:131]
	v_fma_f64 v[130:131], v[158:159], s[0:1], v[106:107]
	v_fma_f64 v[106:107], v[158:159], s[4:5], v[106:107]
	v_add_f64 v[108:109], v[112:113], v[108:109]
	v_add_f64 v[112:113], v[96:97], v[98:99]
	v_mul_f64 v[152:153], v[160:161], s[0:1]
	v_mul_f64 v[158:159], v[160:161], 0.5
	v_mul_f64 v[156:157], v[102:103], s[0:1]
	v_mul_f64 v[102:103], v[102:103], -0.5
	v_add_f64 v[110:111], v[110:111], v[114:115]
	v_add_f64 v[114:115], v[100:101], v[170:171]
	v_fma_f64 v[160:161], v[162:163], s[0:1], v[104:105]
	v_fma_f64 v[164:165], v[154:155], s[4:5], v[128:129]
	;; [unrolled: 1-line block ×4, first 2 shown]
	v_fma_f64 v[128:129], v[130:131], 0.5, v[152:153]
	v_fma_f64 v[130:131], v[130:131], s[4:5], v[158:159]
	v_fma_f64 v[152:153], v[106:107], -0.5, v[156:157]
	v_fma_f64 v[156:157], v[106:107], s[4:5], v[102:103]
	v_add_f64 v[96:97], v[110:111], v[112:113]
	v_add_f64 v[98:99], v[108:109], v[114:115]
	v_add_f64 v[100:101], v[110:111], -v[112:113]
	v_add_f64 v[102:103], v[108:109], -v[114:115]
	v_add_f64 v[104:105], v[160:161], v[128:129]
	v_add_f64 v[106:107], v[164:165], v[130:131]
	;; [unrolled: 1-line block ×4, first 2 shown]
	v_add_f64 v[112:113], v[160:161], -v[128:129]
	v_add_f64 v[114:115], v[164:165], -v[130:131]
	;; [unrolled: 1-line block ×4, first 2 shown]
	ds_write_b128 v195, v[96:99]
	ds_write_b128 v195, v[100:103] offset:528
	ds_write_b128 v195, v[104:107] offset:176
	;; [unrolled: 1-line block ×5, first 2 shown]
	s_and_saveexec_b32 s6, vcc_lo
	s_cbranch_execz .LBB0_9
; %bb.8:
	v_mul_f64 v[96:97], v[46:47], v[136:137]
	v_mul_f64 v[98:99], v[62:63], v[120:121]
	;; [unrolled: 1-line block ×10, first 2 shown]
	v_fma_f64 v[96:97], v[44:45], v[138:139], -v[96:97]
	v_fma_f64 v[98:99], v[60:61], v[122:123], -v[98:99]
	v_fma_f64 v[44:45], v[44:45], v[136:137], v[46:47]
	v_fma_f64 v[46:47], v[60:61], v[120:121], v[62:63]
	v_fma_f64 v[60:61], v[56:57], v[146:147], -v[100:101]
	v_fma_f64 v[100:101], v[52:53], v[142:143], -v[102:103]
	;; [unrolled: 1-line block ×3, first 2 shown]
	v_fma_f64 v[56:57], v[56:57], v[144:145], v[58:59]
	v_fma_f64 v[52:53], v[52:53], v[140:141], v[54:55]
	;; [unrolled: 1-line block ×3, first 2 shown]
	v_mov_b32_e32 v120, 0x42
	v_add_f64 v[62:63], v[96:97], v[98:99]
	v_add_f64 v[54:55], v[96:97], -v[98:99]
	v_add_f64 v[58:59], v[44:45], v[46:47]
	v_add_f64 v[104:105], v[44:45], -v[46:47]
	v_add_f64 v[110:111], v[150:151], v[100:101]
	v_add_f64 v[50:51], v[100:101], v[102:103]
	;; [unrolled: 1-line block ×3, first 2 shown]
	v_add_f64 v[108:109], v[52:53], -v[48:49]
	v_fma_f64 v[62:63], v[62:63], -0.5, v[60:61]
	v_add_f64 v[60:61], v[60:61], v[96:97]
	v_fma_f64 v[58:59], v[58:59], -0.5, v[56:57]
	v_add_f64 v[96:97], v[100:101], -v[102:103]
	v_add_f64 v[102:103], v[110:111], v[102:103]
	v_fma_f64 v[50:51], v[50:51], -0.5, v[150:151]
	v_fma_f64 v[106:107], v[104:105], s[0:1], v[62:63]
	v_fma_f64 v[62:63], v[104:105], s[4:5], v[62:63]
	v_add_f64 v[104:105], v[52:53], v[48:49]
	v_add_f64 v[52:53], v[148:149], v[52:53]
	v_fma_f64 v[56:57], v[54:55], s[4:5], v[58:59]
	v_fma_f64 v[54:55], v[54:55], s[0:1], v[58:59]
	v_add_f64 v[60:61], v[60:61], v[98:99]
	v_fma_f64 v[98:99], v[108:109], s[0:1], v[50:51]
	v_fma_f64 v[108:109], v[108:109], s[4:5], v[50:51]
	v_mul_f64 v[58:59], v[106:107], -0.5
	v_mul_f64 v[100:101], v[62:63], 0.5
	v_fma_f64 v[104:105], v[104:105], -0.5, v[148:149]
	v_mul_f64 v[62:63], v[62:63], s[0:1]
	v_mul_f64 v[106:107], v[106:107], s[0:1]
	v_add_f64 v[48:49], v[52:53], v[48:49]
	v_add_f64 v[52:53], v[44:45], v[46:47]
	;; [unrolled: 1-line block ×3, first 2 shown]
	v_add_f64 v[46:47], v[102:103], -v[60:61]
	v_fma_f64 v[110:111], v[56:57], s[4:5], v[58:59]
	v_fma_f64 v[100:101], v[54:55], s[4:5], v[100:101]
	;; [unrolled: 1-line block ×4, first 2 shown]
	v_fma_f64 v[114:115], v[54:55], 0.5, v[62:63]
	v_fma_f64 v[106:107], v[56:57], -0.5, v[106:107]
	v_add_f64 v[44:45], v[48:49], -v[52:53]
	v_add_f64 v[48:49], v[48:49], v[52:53]
	v_add_f64 v[54:55], v[98:99], -v[110:111]
	v_add_f64 v[62:63], v[98:99], v[110:111]
	v_add_f64 v[98:99], v[108:109], v[100:101]
	v_add_f64 v[58:59], v[108:109], -v[100:101]
	v_add_f64 v[96:97], v[104:105], v[114:115]
	v_add_f64 v[60:61], v[112:113], v[106:107]
	v_add_f64 v[56:57], v[104:105], -v[114:115]
	v_add_f64 v[52:53], v[112:113], -v[106:107]
	v_mul_u32_u24_sdwa v100, v192, v120 dst_sel:DWORD dst_unused:UNUSED_PAD src0_sel:WORD_0 src1_sel:DWORD
	v_add_nc_u32_e32 v100, v100, v193
	v_lshl_add_u32 v100, v100, 4, v191
	ds_write_b128 v100, v[48:51]
	ds_write_b128 v100, v[44:47] offset:528
	ds_write_b128 v100, v[96:99] offset:176
	;; [unrolled: 1-line block ×5, first 2 shown]
.LBB0_9:
	s_or_b32 exec_lo, exec_lo, s6
	s_waitcnt lgkmcnt(0)
	s_barrier
	buffer_gl0_inv
	ds_read_b128 v[48:51], v190 offset:1056
	ds_read_b128 v[44:47], v190
	ds_read_b128 v[52:55], v190 offset:2112
	ds_read_b128 v[56:59], v190 offset:3168
	;; [unrolled: 1-line block ×9, first 2 shown]
	s_mov_b32 s4, 0xf8bb580b
	s_mov_b32 s6, 0x8764f0ba
	;; [unrolled: 1-line block ×9, first 2 shown]
	s_waitcnt lgkmcnt(10)
	v_mul_f64 v[128:129], v[90:91], v[50:51]
	v_mul_f64 v[90:91], v[90:91], v[48:49]
	s_waitcnt lgkmcnt(8)
	v_mul_f64 v[132:133], v[74:75], v[54:55]
	v_mul_f64 v[74:75], v[74:75], v[52:53]
	;; [unrolled: 3-line block ×3, first 2 shown]
	s_mov_b32 s16, 0xd9c712b6
	s_waitcnt lgkmcnt(3)
	v_mul_f64 v[138:139], v[82:83], v[106:107]
	s_waitcnt lgkmcnt(2)
	v_mul_f64 v[134:135], v[86:87], v[110:111]
	v_mul_f64 v[86:87], v[86:87], v[108:109]
	s_waitcnt lgkmcnt(0)
	v_mul_f64 v[130:131], v[118:119], v[120:121]
	v_mul_f64 v[82:83], v[82:83], v[104:105]
	s_mov_b32 s26, 0x7f775887
	s_mov_b32 s28, 0xfd768dbf
	;; [unrolled: 1-line block ×10, first 2 shown]
	v_fma_f64 v[128:129], v[88:89], v[48:49], v[128:129]
	v_fma_f64 v[88:89], v[88:89], v[50:51], -v[90:91]
	v_mul_f64 v[50:51], v[118:119], v[122:123]
	v_mul_f64 v[90:91], v[126:127], v[114:115]
	;; [unrolled: 1-line block ×5, first 2 shown]
	v_fma_f64 v[52:53], v[72:73], v[52:53], v[132:133]
	v_fma_f64 v[54:55], v[72:73], v[54:55], -v[74:75]
	v_fma_f64 v[60:61], v[64:65], v[60:61], v[136:137]
	v_fma_f64 v[48:49], v[116:117], v[122:123], -v[130:131]
	v_mul_f64 v[122:123], v[94:95], v[98:99]
	v_mul_f64 v[94:95], v[94:95], v[96:97]
	;; [unrolled: 1-line block ×4, first 2 shown]
	v_fma_f64 v[62:63], v[64:65], v[62:63], -v[66:67]
	v_fma_f64 v[64:65], v[80:81], v[104:105], v[138:139]
	v_fma_f64 v[66:67], v[80:81], v[106:107], -v[82:83]
	s_mov_b32 s25, 0x3fefac9e
	s_mov_b32 s24, s18
	;; [unrolled: 1-line block ×4, first 2 shown]
	v_add_f64 v[72:73], v[44:45], v[128:129]
	v_add_f64 v[74:75], v[46:47], v[88:89]
	v_fma_f64 v[50:51], v[116:117], v[120:121], v[50:51]
	v_fma_f64 v[90:91], v[124:125], v[112:113], v[90:91]
	v_fma_f64 v[112:113], v[124:125], v[114:115], -v[118:119]
	v_fma_f64 v[56:57], v[68:69], v[56:57], v[126:127]
	v_fma_f64 v[58:59], v[68:69], v[58:59], -v[70:71]
	;; [unrolled: 2-line block ×3, first 2 shown]
	s_mov_b32 s31, 0x3fe82f19
	v_add_f64 v[80:81], v[88:89], -v[48:49]
	v_add_f64 v[82:83], v[88:89], v[48:49]
	v_fma_f64 v[86:87], v[92:93], v[98:99], -v[94:95]
	v_fma_f64 v[88:89], v[76:77], v[100:101], v[130:131]
	v_fma_f64 v[76:77], v[76:77], v[102:103], -v[78:79]
	v_fma_f64 v[84:85], v[92:93], v[96:97], v[122:123]
	s_mov_b32 s14, s12
	s_mov_b32 s30, s22
	v_add_f64 v[108:109], v[62:63], v[66:67]
	v_add_f64 v[110:111], v[62:63], -v[66:67]
	v_add_f64 v[106:107], v[60:61], v[64:65]
	v_add_f64 v[72:73], v[72:73], v[52:53]
	v_add_f64 v[74:75], v[74:75], v[54:55]
	v_add_f64 v[78:79], v[128:129], v[50:51]
	v_add_f64 v[92:93], v[128:129], -v[50:51]
	v_add_f64 v[96:97], v[54:55], -v[112:113]
	v_add_f64 v[54:55], v[54:55], v[112:113]
	v_add_f64 v[94:95], v[52:53], v[90:91]
	;; [unrolled: 1-line block ×3, first 2 shown]
	v_add_f64 v[102:103], v[56:57], -v[68:69]
	v_add_f64 v[100:101], v[58:59], v[70:71]
	v_add_f64 v[104:105], v[58:59], -v[70:71]
	v_mul_f64 v[114:115], v[80:81], s[4:5]
	v_mul_f64 v[116:117], v[82:83], s[6:7]
	v_add_f64 v[52:53], v[52:53], -v[90:91]
	v_mul_f64 v[118:119], v[80:81], s[12:13]
	v_mul_f64 v[120:121], v[82:83], s[16:17]
	;; [unrolled: 1-line block ×4, first 2 shown]
	v_add_f64 v[56:57], v[72:73], v[56:57]
	v_add_f64 v[58:59], v[74:75], v[58:59]
	v_mul_f64 v[72:73], v[80:81], s[18:19]
	v_mul_f64 v[74:75], v[82:83], s[20:21]
	;; [unrolled: 1-line block ×9, first 2 shown]
	v_fma_f64 v[156:157], v[78:79], s[6:7], v[114:115]
	v_fma_f64 v[158:159], v[92:93], s[0:1], v[116:117]
	v_mul_f64 v[132:133], v[54:55], s[26:27]
	v_mul_f64 v[138:139], v[96:97], s[24:25]
	;; [unrolled: 1-line block ×7, first 2 shown]
	v_fma_f64 v[114:115], v[78:79], s[6:7], -v[114:115]
	v_fma_f64 v[116:117], v[92:93], s[4:5], v[116:117]
	v_add_f64 v[56:57], v[56:57], v[60:61]
	v_add_f64 v[58:59], v[58:59], v[62:63]
	v_fma_f64 v[164:165], v[78:79], s[20:21], v[72:73]
	v_fma_f64 v[166:167], v[92:93], s[24:25], v[74:75]
	v_fma_f64 v[72:73], v[78:79], s[20:21], -v[72:73]
	v_fma_f64 v[74:75], v[92:93], s[18:19], v[74:75]
	v_fma_f64 v[160:161], v[78:79], s[16:17], v[118:119]
	v_fma_f64 v[162:163], v[92:93], s[14:15], v[120:121]
	v_fma_f64 v[118:119], v[78:79], s[16:17], -v[118:119]
	v_fma_f64 v[120:121], v[92:93], s[12:13], v[120:121]
	;; [unrolled: 4-line block ×4, first 2 shown]
	v_fma_f64 v[82:83], v[94:95], s[16:17], v[126:127]
	v_fma_f64 v[92:93], v[52:53], s[14:15], v[128:129]
	v_add_f64 v[156:157], v[44:45], v[156:157]
	v_add_f64 v[158:159], v[46:47], v[158:159]
	;; [unrolled: 1-line block ×4, first 2 shown]
	v_mul_f64 v[62:63], v[104:105], s[14:15]
	v_mul_f64 v[150:151], v[100:101], s[16:17]
	v_fma_f64 v[181:182], v[94:95], s[34:35], v[134:135]
	v_fma_f64 v[183:184], v[52:53], s[28:29], v[136:137]
	v_fma_f64 v[134:135], v[94:95], s[34:35], -v[134:135]
	v_fma_f64 v[136:137], v[52:53], s[36:37], v[136:137]
	v_add_f64 v[72:73], v[44:45], v[72:73]
	v_add_f64 v[74:75], v[46:47], v[74:75]
	v_mul_f64 v[152:153], v[104:105], s[4:5]
	v_fma_f64 v[126:127], v[94:95], s[16:17], -v[126:127]
	v_fma_f64 v[128:129], v[52:53], s[12:13], v[128:129]
	v_fma_f64 v[177:178], v[94:95], s[26:27], v[130:131]
	;; [unrolled: 1-line block ×3, first 2 shown]
	v_fma_f64 v[130:131], v[94:95], s[26:27], -v[130:131]
	v_fma_f64 v[132:133], v[52:53], s[22:23], v[132:133]
	v_fma_f64 v[185:186], v[94:95], s[20:21], v[138:139]
	;; [unrolled: 1-line block ×3, first 2 shown]
	v_fma_f64 v[138:139], v[94:95], s[20:21], -v[138:139]
	v_fma_f64 v[140:141], v[52:53], s[24:25], v[140:141]
	v_fma_f64 v[191:192], v[94:95], s[6:7], v[96:97]
	v_add_f64 v[56:57], v[56:57], v[88:89]
	v_add_f64 v[58:59], v[58:59], v[76:77]
	v_fma_f64 v[193:194], v[52:53], s[4:5], v[54:55]
	v_fma_f64 v[94:95], v[94:95], s[6:7], -v[96:97]
	v_fma_f64 v[52:53], v[52:53], s[0:1], v[54:55]
	v_fma_f64 v[54:55], v[98:99], s[20:21], v[142:143]
	;; [unrolled: 1-line block ×3, first 2 shown]
	v_add_f64 v[118:119], v[44:45], v[118:119]
	v_add_f64 v[120:121], v[46:47], v[120:121]
	;; [unrolled: 1-line block ×4, first 2 shown]
	v_mul_f64 v[146:147], v[104:105], s[36:37]
	v_mul_f64 v[148:149], v[100:101], s[34:35]
	;; [unrolled: 1-line block ×4, first 2 shown]
	v_fma_f64 v[199:200], v[98:99], s[16:17], v[62:63]
	v_fma_f64 v[201:202], v[102:103], s[12:13], v[150:151]
	v_fma_f64 v[62:63], v[98:99], s[16:17], -v[62:63]
	v_fma_f64 v[150:151], v[102:103], s[14:15], v[150:151]
	v_add_f64 v[72:73], v[134:135], v[72:73]
	v_add_f64 v[74:75], v[136:137], v[74:75]
	v_mul_f64 v[100:101], v[100:101], s[26:27]
	v_add_f64 v[56:57], v[56:57], v[64:65]
	v_add_f64 v[58:59], v[58:59], v[66:67]
	;; [unrolled: 1-line block ×16, first 2 shown]
	v_fma_f64 v[142:143], v[98:99], s[20:21], -v[142:143]
	v_add_f64 v[60:61], v[60:61], -v[64:65]
	v_mul_f64 v[64:65], v[110:111], s[22:23]
	v_fma_f64 v[144:145], v[102:103], s[18:19], v[144:145]
	v_fma_f64 v[195:196], v[98:99], s[34:35], v[146:147]
	;; [unrolled: 1-line block ×3, first 2 shown]
	v_add_f64 v[56:57], v[56:57], v[68:69]
	v_add_f64 v[58:59], v[58:59], v[70:71]
	;; [unrolled: 1-line block ×5, first 2 shown]
	v_fma_f64 v[146:147], v[98:99], s[34:35], -v[146:147]
	v_add_f64 v[70:71], v[177:178], v[116:117]
	v_add_f64 v[82:83], v[179:180], v[160:161]
	v_add_f64 v[120:121], v[185:186], v[166:167]
	v_add_f64 v[92:93], v[130:131], v[118:119]
	v_add_f64 v[126:127], v[187:188], v[168:169]
	v_fma_f64 v[148:149], v[102:103], s[36:37], v[148:149]
	v_add_f64 v[44:45], v[94:95], v[44:45]
	v_add_f64 v[46:47], v[52:53], v[46:47]
	v_add_f64 v[52:53], v[54:55], v[78:79]
	v_add_f64 v[54:55], v[96:97], v[80:81]
	v_fma_f64 v[80:81], v[98:99], s[6:7], v[152:153]
	v_mul_f64 v[78:79], v[108:109], s[26:27]
	v_mul_f64 v[94:95], v[110:111], s[24:25]
	;; [unrolled: 1-line block ×3, first 2 shown]
	v_add_f64 v[122:123], v[138:139], v[122:123]
	v_add_f64 v[124:125], v[140:141], v[124:125]
	;; [unrolled: 1-line block ×3, first 2 shown]
	v_fma_f64 v[90:91], v[102:103], s[0:1], v[154:155]
	v_add_f64 v[58:59], v[58:59], v[112:113]
	v_fma_f64 v[112:113], v[98:99], s[6:7], -v[152:153]
	v_fma_f64 v[132:133], v[102:103], s[4:5], v[154:155]
	v_add_f64 v[62:63], v[62:63], v[72:73]
	v_add_f64 v[72:73], v[150:151], v[74:75]
	v_fma_f64 v[74:75], v[98:99], s[26:27], -v[104:105]
	v_add_f64 v[116:117], v[181:182], v[162:163]
	v_fma_f64 v[134:135], v[98:99], s[26:27], v[104:105]
	v_mul_f64 v[104:105], v[110:111], s[4:5]
	v_add_f64 v[118:119], v[183:184], v[164:165]
	v_add_f64 v[66:67], v[142:143], v[66:67]
	v_fma_f64 v[136:137], v[102:103], s[30:31], v[100:101]
	v_fma_f64 v[98:99], v[102:103], s[22:23], v[100:101]
	v_fma_f64 v[100:101], v[106:107], s[26:27], v[64:65]
	v_add_f64 v[80:81], v[80:81], v[120:121]
	v_fma_f64 v[64:65], v[106:107], s[26:27], -v[64:65]
	v_mul_f64 v[120:121], v[108:109], s[6:7]
	v_add_f64 v[68:69], v[144:145], v[68:69]
	v_fma_f64 v[102:103], v[60:61], s[30:31], v[78:79]
	v_fma_f64 v[78:79], v[60:61], s[22:23], v[78:79]
	v_add_f64 v[70:71], v[195:196], v[70:71]
	v_add_f64 v[82:83], v[197:198], v[82:83]
	;; [unrolled: 1-line block ×4, first 2 shown]
	v_fma_f64 v[126:127], v[106:107], s[20:21], v[94:95]
	v_fma_f64 v[138:139], v[60:61], s[18:19], v[96:97]
	v_fma_f64 v[94:95], v[106:107], s[20:21], -v[94:95]
	v_add_f64 v[114:115], v[148:149], v[114:115]
	v_add_f64 v[112:113], v[112:113], v[122:123]
	v_fma_f64 v[96:97], v[60:61], s[24:25], v[96:97]
	v_add_f64 v[122:123], v[132:133], v[124:125]
	v_mul_f64 v[124:125], v[110:111], s[28:29]
	v_mul_f64 v[132:133], v[108:109], s[34:35]
	;; [unrolled: 1-line block ×4, first 2 shown]
	v_add_f64 v[44:45], v[74:75], v[44:45]
	v_add_f64 v[74:75], v[86:87], -v[76:77]
	v_add_f64 v[76:77], v[86:87], v[76:77]
	v_add_f64 v[128:129], v[191:192], v[170:171]
	;; [unrolled: 1-line block ×4, first 2 shown]
	v_fma_f64 v[86:87], v[106:107], s[6:7], v[104:105]
	v_add_f64 v[118:119], v[201:202], v[118:119]
	v_add_f64 v[64:65], v[64:65], v[66:67]
	v_fma_f64 v[66:67], v[60:61], s[0:1], v[120:121]
	v_add_f64 v[46:47], v[98:99], v[46:47]
	v_add_f64 v[98:99], v[78:79], v[68:69]
	v_fma_f64 v[78:79], v[106:107], s[6:7], -v[104:105]
	v_add_f64 v[68:69], v[126:127], v[70:71]
	v_add_f64 v[70:71], v[138:139], v[82:83]
	;; [unrolled: 1-line block ×3, first 2 shown]
	v_fma_f64 v[94:95], v[60:61], s[4:5], v[120:121]
	v_add_f64 v[52:53], v[100:101], v[52:53]
	v_add_f64 v[54:55], v[102:103], v[54:55]
	v_add_f64 v[92:93], v[96:97], v[114:115]
	v_fma_f64 v[96:97], v[106:107], s[34:35], v[124:125]
	v_fma_f64 v[100:101], v[60:61], s[36:37], v[132:133]
	v_fma_f64 v[102:103], v[106:107], s[34:35], -v[124:125]
	v_fma_f64 v[104:105], v[60:61], s[28:29], v[132:133]
	v_fma_f64 v[114:115], v[106:107], s[16:17], v[110:111]
	v_fma_f64 v[120:121], v[60:61], s[12:13], v[108:109]
	v_fma_f64 v[106:107], v[106:107], s[16:17], -v[110:111]
	v_fma_f64 v[60:61], v[60:61], s[14:15], v[108:109]
	v_add_f64 v[108:109], v[84:85], v[88:89]
	v_add_f64 v[84:85], v[84:85], -v[88:89]
	v_mul_f64 v[88:89], v[74:75], s[28:29]
	v_mul_f64 v[110:111], v[76:77], s[34:35]
	v_add_f64 v[128:129], v[134:135], v[128:129]
	v_add_f64 v[130:131], v[136:137], v[130:131]
	;; [unrolled: 1-line block ×3, first 2 shown]
	v_mul_f64 v[116:117], v[74:75], s[0:1]
	v_mul_f64 v[124:125], v[76:77], s[6:7]
	v_add_f64 v[66:67], v[66:67], v[118:119]
	v_mul_f64 v[118:119], v[74:75], s[22:23]
	v_mul_f64 v[126:127], v[76:77], s[26:27]
	v_add_f64 v[62:63], v[78:79], v[62:63]
	v_mul_f64 v[78:79], v[74:75], s[14:15]
	v_mul_f64 v[132:133], v[76:77], s[16:17]
	v_add_f64 v[94:95], v[94:95], v[72:73]
	v_mul_f64 v[72:73], v[74:75], s[18:19]
	v_mul_f64 v[74:75], v[76:77], s[20:21]
	v_add_f64 v[76:77], v[96:97], v[80:81]
	v_add_f64 v[80:81], v[100:101], v[90:91]
	v_add_f64 v[90:91], v[102:103], v[112:113]
	;; [unrolled: 1-line block ×5, first 2 shown]
	v_fma_f64 v[60:61], v[108:109], s[34:35], v[88:89]
	v_fma_f64 v[112:113], v[84:85], s[36:37], v[110:111]
	v_add_f64 v[100:101], v[114:115], v[128:129]
	v_add_f64 v[102:103], v[120:121], v[130:131]
	v_fma_f64 v[88:89], v[108:109], s[34:35], -v[88:89]
	v_fma_f64 v[114:115], v[108:109], s[6:7], v[116:117]
	v_fma_f64 v[120:121], v[84:85], s[4:5], v[124:125]
	v_fma_f64 v[116:117], v[108:109], s[6:7], -v[116:117]
	v_fma_f64 v[122:123], v[108:109], s[26:27], v[118:119]
	v_fma_f64 v[128:129], v[84:85], s[30:31], v[126:127]
	;; [unrolled: 3-line block ×5, first 2 shown]
	v_fma_f64 v[126:127], v[84:85], s[22:23], v[126:127]
	v_fma_f64 v[124:125], v[84:85], s[0:1], v[124:125]
	;; [unrolled: 1-line block ×3, first 2 shown]
	v_add_f64 v[44:45], v[56:57], v[50:51]
	v_add_f64 v[46:47], v[58:59], v[48:49]
	;; [unrolled: 1-line block ×22, first 2 shown]
	ds_write_b128 v190, v[44:47]
	ds_write_b128 v190, v[48:51] offset:1056
	ds_write_b128 v190, v[56:59] offset:2112
	;; [unrolled: 1-line block ×10, first 2 shown]
	s_waitcnt lgkmcnt(0)
	s_barrier
	buffer_gl0_inv
	ds_read_b128 v[44:47], v190
	ds_read_b128 v[48:51], v190 offset:1056
	v_mad_u64_u32 v[56:57], null, s10, v172, 0
	v_mad_u64_u32 v[58:59], null, s8, v189, 0
	s_mov_b32 s0, 0x3a88d0c0
	s_mov_b32 s1, 0x3f569147
	s_waitcnt lgkmcnt(1)
	v_mul_f64 v[52:53], v[6:7], v[46:47]
	v_mul_f64 v[6:7], v[6:7], v[44:45]
	s_waitcnt lgkmcnt(0)
	v_mul_f64 v[60:61], v[2:3], v[50:51]
	v_mul_f64 v[2:3], v[2:3], v[48:49]
	v_fma_f64 v[44:45], v[4:5], v[44:45], v[52:53]
	v_fma_f64 v[46:47], v[4:5], v[46:47], -v[6:7]
	ds_read_b128 v[4:7], v190 offset:2112
	v_mov_b32_e32 v52, v57
	v_fma_f64 v[48:49], v[0:1], v[48:49], v[60:61]
	v_fma_f64 v[50:51], v[0:1], v[50:51], -v[2:3]
	ds_read_b128 v[0:3], v190 offset:4224
	v_mad_u64_u32 v[52:53], null, s11, v172, v[52:53]
	v_mov_b32_e32 v53, v59
	v_mad_u64_u32 v[62:63], null, s9, v189, v[53:54]
	v_mov_b32_e32 v57, v52
	ds_read_b128 v[52:55], v190 offset:3168
	s_waitcnt lgkmcnt(2)
	v_mul_f64 v[63:64], v[42:43], v[6:7]
	v_mul_f64 v[42:43], v[42:43], v[4:5]
	;; [unrolled: 1-line block ×4, first 2 shown]
	v_mov_b32_e32 v59, v62
	v_lshlrev_b64 v[56:57], 4, v[56:57]
	v_lshlrev_b64 v[58:59], 4, v[58:59]
	v_add_co_u32 v56, vcc_lo, s2, v56
	v_add_co_ci_u32_e32 v57, vcc_lo, s3, v57, vcc_lo
	s_mul_i32 s2, s9, 0x420
	v_add_co_u32 v60, vcc_lo, v56, v58
	v_add_co_ci_u32_e32 v61, vcc_lo, v57, v59, vcc_lo
	s_mul_hi_u32 s3, s8, 0x420
	s_waitcnt lgkmcnt(0)
	v_mul_f64 v[72:73], v[22:23], v[54:55]
	v_mul_f64 v[22:23], v[22:23], v[52:53]
	v_fma_f64 v[64:65], v[40:41], v[4:5], v[63:64]
	v_fma_f64 v[66:67], v[40:41], v[6:7], -v[42:43]
	ds_read_b128 v[40:43], v190 offset:5280
	s_add_i32 s3, s3, s2
	s_mul_i32 s2, s8, 0x420
	v_mul_f64 v[74:75], v[26:27], v[2:3]
	v_mul_f64 v[26:27], v[26:27], v[0:1]
	global_store_dwordx4 v[60:61], v[44:47], off
	ds_read_b128 v[44:47], v190 offset:6336
	v_add_co_u32 v76, vcc_lo, v60, s2
	v_mul_f64 v[4:5], v[48:49], s[0:1]
	v_mul_f64 v[6:7], v[50:51], s[0:1]
	ds_read_b128 v[48:51], v190 offset:7392
	ds_read_b128 v[56:59], v190 offset:8448
	v_add_co_ci_u32_e32 v77, vcc_lo, s3, v61, vcc_lo
	ds_read_b128 v[60:63], v190 offset:9504
	ds_read_b128 v[68:71], v190 offset:10560
	v_fma_f64 v[52:53], v[20:21], v[52:53], v[72:73]
	v_fma_f64 v[20:21], v[20:21], v[54:55], -v[22:23]
	s_waitcnt lgkmcnt(5)
	v_mul_f64 v[22:23], v[14:15], v[42:43]
	v_mul_f64 v[14:15], v[14:15], v[40:41]
	v_mul_f64 v[64:65], v[64:65], s[0:1]
	v_mul_f64 v[66:67], v[66:67], s[0:1]
	v_add_co_u32 v54, vcc_lo, v76, s2
	s_waitcnt lgkmcnt(4)
	v_mul_f64 v[72:73], v[10:11], v[46:47]
	v_mul_f64 v[10:11], v[10:11], v[44:45]
	v_fma_f64 v[74:75], v[24:25], v[0:1], v[74:75]
	v_fma_f64 v[24:25], v[24:25], v[2:3], -v[26:27]
	s_waitcnt lgkmcnt(3)
	v_mul_f64 v[26:27], v[18:19], v[50:51]
	v_mul_f64 v[18:19], v[18:19], v[48:49]
	s_waitcnt lgkmcnt(2)
	v_mul_f64 v[78:79], v[30:31], v[58:59]
	v_mul_f64 v[30:31], v[30:31], v[56:57]
	s_waitcnt lgkmcnt(1)
	v_mul_f64 v[80:81], v[34:35], v[62:63]
	v_mul_f64 v[34:35], v[34:35], v[60:61]
	s_waitcnt lgkmcnt(0)
	v_mul_f64 v[82:83], v[38:39], v[70:71]
	v_mul_f64 v[38:39], v[38:39], v[68:69]
	v_add_co_ci_u32_e32 v55, vcc_lo, s3, v77, vcc_lo
	global_store_dwordx4 v[76:77], v[4:7], off
	global_store_dwordx4 v[54:55], v[64:67], off
	v_mul_f64 v[2:3], v[20:21], s[0:1]
	v_fma_f64 v[20:21], v[12:13], v[40:41], v[22:23]
	v_fma_f64 v[12:13], v[12:13], v[42:43], -v[14:15]
	v_fma_f64 v[14:15], v[8:9], v[44:45], v[72:73]
	v_fma_f64 v[22:23], v[8:9], v[46:47], -v[10:11]
	v_add_co_u32 v40, vcc_lo, v54, s2
	v_mul_f64 v[6:7], v[24:25], s[0:1]
	v_fma_f64 v[24:25], v[16:17], v[48:49], v[26:27]
	v_fma_f64 v[18:19], v[16:17], v[50:51], -v[18:19]
	v_fma_f64 v[26:27], v[28:29], v[56:57], v[78:79]
	v_fma_f64 v[28:29], v[28:29], v[58:59], -v[30:31]
	;; [unrolled: 2-line block ×4, first 2 shown]
	v_add_co_ci_u32_e32 v41, vcc_lo, s3, v55, vcc_lo
	v_mul_f64 v[0:1], v[52:53], s[0:1]
	v_add_co_u32 v38, vcc_lo, v40, s2
	v_add_co_ci_u32_e32 v39, vcc_lo, s3, v41, vcc_lo
	v_mul_f64 v[4:5], v[74:75], s[0:1]
	v_add_co_u32 v42, vcc_lo, v38, s2
	;; [unrolled: 3-line block ×3, first 2 shown]
	v_mul_f64 v[10:11], v[12:13], s[0:1]
	v_mul_f64 v[12:13], v[14:15], s[0:1]
	;; [unrolled: 1-line block ×3, first 2 shown]
	v_add_co_ci_u32_e32 v45, vcc_lo, s3, v43, vcc_lo
	v_mul_f64 v[16:17], v[24:25], s[0:1]
	v_mul_f64 v[18:19], v[18:19], s[0:1]
	;; [unrolled: 1-line block ×8, first 2 shown]
	v_add_co_u32 v32, vcc_lo, v44, s2
	v_add_co_ci_u32_e32 v33, vcc_lo, s3, v45, vcc_lo
	global_store_dwordx4 v[40:41], v[0:3], off
	v_add_co_u32 v0, vcc_lo, v32, s2
	v_add_co_ci_u32_e32 v1, vcc_lo, s3, v33, vcc_lo
	global_store_dwordx4 v[38:39], v[4:7], off
	;; [unrolled: 3-line block ×4, first 2 shown]
	global_store_dwordx4 v[32:33], v[16:19], off
	global_store_dwordx4 v[0:1], v[20:23], off
	;; [unrolled: 1-line block ×4, first 2 shown]
.LBB0_10:
	s_endpgm
	.section	.rodata,"a",@progbits
	.p2align	6, 0x0
	.amdhsa_kernel bluestein_single_back_len726_dim1_dp_op_CI_CI
		.amdhsa_group_segment_fixed_size 23232
		.amdhsa_private_segment_fixed_size 0
		.amdhsa_kernarg_size 104
		.amdhsa_user_sgpr_count 6
		.amdhsa_user_sgpr_private_segment_buffer 1
		.amdhsa_user_sgpr_dispatch_ptr 0
		.amdhsa_user_sgpr_queue_ptr 0
		.amdhsa_user_sgpr_kernarg_segment_ptr 1
		.amdhsa_user_sgpr_dispatch_id 0
		.amdhsa_user_sgpr_flat_scratch_init 0
		.amdhsa_user_sgpr_private_segment_size 0
		.amdhsa_wavefront_size32 1
		.amdhsa_uses_dynamic_stack 0
		.amdhsa_system_sgpr_private_segment_wavefront_offset 0
		.amdhsa_system_sgpr_workgroup_id_x 1
		.amdhsa_system_sgpr_workgroup_id_y 0
		.amdhsa_system_sgpr_workgroup_id_z 0
		.amdhsa_system_sgpr_workgroup_info 0
		.amdhsa_system_vgpr_workitem_id 0
		.amdhsa_next_free_vgpr 236
		.amdhsa_next_free_sgpr 38
		.amdhsa_reserve_vcc 1
		.amdhsa_reserve_flat_scratch 0
		.amdhsa_float_round_mode_32 0
		.amdhsa_float_round_mode_16_64 0
		.amdhsa_float_denorm_mode_32 3
		.amdhsa_float_denorm_mode_16_64 3
		.amdhsa_dx10_clamp 1
		.amdhsa_ieee_mode 1
		.amdhsa_fp16_overflow 0
		.amdhsa_workgroup_processor_mode 1
		.amdhsa_memory_ordered 1
		.amdhsa_forward_progress 0
		.amdhsa_shared_vgpr_count 0
		.amdhsa_exception_fp_ieee_invalid_op 0
		.amdhsa_exception_fp_denorm_src 0
		.amdhsa_exception_fp_ieee_div_zero 0
		.amdhsa_exception_fp_ieee_overflow 0
		.amdhsa_exception_fp_ieee_underflow 0
		.amdhsa_exception_fp_ieee_inexact 0
		.amdhsa_exception_int_div_zero 0
	.end_amdhsa_kernel
	.text
.Lfunc_end0:
	.size	bluestein_single_back_len726_dim1_dp_op_CI_CI, .Lfunc_end0-bluestein_single_back_len726_dim1_dp_op_CI_CI
                                        ; -- End function
	.section	.AMDGPU.csdata,"",@progbits
; Kernel info:
; codeLenInByte = 17692
; NumSgprs: 40
; NumVgprs: 236
; ScratchSize: 0
; MemoryBound: 0
; FloatMode: 240
; IeeeMode: 1
; LDSByteSize: 23232 bytes/workgroup (compile time only)
; SGPRBlocks: 4
; VGPRBlocks: 29
; NumSGPRsForWavesPerEU: 40
; NumVGPRsForWavesPerEU: 236
; Occupancy: 4
; WaveLimiterHint : 1
; COMPUTE_PGM_RSRC2:SCRATCH_EN: 0
; COMPUTE_PGM_RSRC2:USER_SGPR: 6
; COMPUTE_PGM_RSRC2:TRAP_HANDLER: 0
; COMPUTE_PGM_RSRC2:TGID_X_EN: 1
; COMPUTE_PGM_RSRC2:TGID_Y_EN: 0
; COMPUTE_PGM_RSRC2:TGID_Z_EN: 0
; COMPUTE_PGM_RSRC2:TIDIG_COMP_CNT: 0
	.text
	.p2alignl 6, 3214868480
	.fill 48, 4, 3214868480
	.type	__hip_cuid_f9c0dd0ac2265b69,@object ; @__hip_cuid_f9c0dd0ac2265b69
	.section	.bss,"aw",@nobits
	.globl	__hip_cuid_f9c0dd0ac2265b69
__hip_cuid_f9c0dd0ac2265b69:
	.byte	0                               ; 0x0
	.size	__hip_cuid_f9c0dd0ac2265b69, 1

	.ident	"AMD clang version 19.0.0git (https://github.com/RadeonOpenCompute/llvm-project roc-6.4.0 25133 c7fe45cf4b819c5991fe208aaa96edf142730f1d)"
	.section	".note.GNU-stack","",@progbits
	.addrsig
	.addrsig_sym __hip_cuid_f9c0dd0ac2265b69
	.amdgpu_metadata
---
amdhsa.kernels:
  - .args:
      - .actual_access:  read_only
        .address_space:  global
        .offset:         0
        .size:           8
        .value_kind:     global_buffer
      - .actual_access:  read_only
        .address_space:  global
        .offset:         8
        .size:           8
        .value_kind:     global_buffer
      - .actual_access:  read_only
        .address_space:  global
        .offset:         16
        .size:           8
        .value_kind:     global_buffer
      - .actual_access:  read_only
        .address_space:  global
        .offset:         24
        .size:           8
        .value_kind:     global_buffer
      - .actual_access:  read_only
        .address_space:  global
        .offset:         32
        .size:           8
        .value_kind:     global_buffer
      - .offset:         40
        .size:           8
        .value_kind:     by_value
      - .address_space:  global
        .offset:         48
        .size:           8
        .value_kind:     global_buffer
      - .address_space:  global
        .offset:         56
        .size:           8
        .value_kind:     global_buffer
      - .address_space:  global
        .offset:         64
        .size:           8
        .value_kind:     global_buffer
      - .address_space:  global
        .offset:         72
        .size:           8
        .value_kind:     global_buffer
      - .offset:         80
        .size:           4
        .value_kind:     by_value
      - .address_space:  global
        .offset:         88
        .size:           8
        .value_kind:     global_buffer
      - .address_space:  global
        .offset:         96
        .size:           8
        .value_kind:     global_buffer
    .group_segment_fixed_size: 23232
    .kernarg_segment_align: 8
    .kernarg_segment_size: 104
    .language:       OpenCL C
    .language_version:
      - 2
      - 0
    .max_flat_workgroup_size: 132
    .name:           bluestein_single_back_len726_dim1_dp_op_CI_CI
    .private_segment_fixed_size: 0
    .sgpr_count:     40
    .sgpr_spill_count: 0
    .symbol:         bluestein_single_back_len726_dim1_dp_op_CI_CI.kd
    .uniform_work_group_size: 1
    .uses_dynamic_stack: false
    .vgpr_count:     236
    .vgpr_spill_count: 0
    .wavefront_size: 32
    .workgroup_processor_mode: 1
amdhsa.target:   amdgcn-amd-amdhsa--gfx1030
amdhsa.version:
  - 1
  - 2
...

	.end_amdgpu_metadata
